;; amdgpu-corpus repo=ROCm/rocFFT kind=compiled arch=gfx950 opt=O3
	.text
	.amdgcn_target "amdgcn-amd-amdhsa--gfx950"
	.amdhsa_code_object_version 6
	.protected	bluestein_single_back_len234_dim1_half_op_CI_CI ; -- Begin function bluestein_single_back_len234_dim1_half_op_CI_CI
	.globl	bluestein_single_back_len234_dim1_half_op_CI_CI
	.p2align	8
	.type	bluestein_single_back_len234_dim1_half_op_CI_CI,@function
bluestein_single_back_len234_dim1_half_op_CI_CI: ; @bluestein_single_back_len234_dim1_half_op_CI_CI
; %bb.0:
	s_load_dwordx4 s[8:11], s[0:1], 0x28
	v_mul_u32_u24_e32 v1, 0x9d9, v0
	v_lshrrev_b32_e32 v1, 16, v1
	v_mov_b32_e32 v9, 0
	v_lshl_add_u32 v10, s2, 1, v1
	v_mov_b32_e32 v11, v9
	s_waitcnt lgkmcnt(0)
	v_cmp_gt_u64_e32 vcc, s[8:9], v[10:11]
	s_and_saveexec_b64 s[2:3], vcc
	s_cbranch_execz .LBB0_23
; %bb.1:
	s_load_dwordx2 s[12:13], s[0:1], 0x0
	s_load_dwordx2 s[14:15], s[0:1], 0x38
	v_mul_lo_u16_e32 v2, 26, v1
	v_sub_u16_e32 v8, v0, v2
	v_and_b32_e32 v0, 1, v1
	v_mov_b32_e32 v1, 0xea
	v_cmp_eq_u32_e32 vcc, 1, v0
	v_lshlrev_b32_e32 v11, 2, v8
	s_nop 0
	v_cndmask_b32_e32 v28, 0, v1, vcc
	v_cmp_gt_u16_e32 vcc, 18, v8
	v_lshlrev_b32_e32 v29, 2, v28
	s_and_saveexec_b64 s[2:3], vcc
	s_cbranch_execz .LBB0_3
; %bb.2:
	s_load_dwordx2 s[4:5], s[0:1], 0x18
	v_mov_b32_e32 v0, s10
	v_mov_b32_e32 v1, s11
	v_lshl_add_u32 v31, v8, 2, v29
	v_add_u32_e32 v34, v29, v11
	s_waitcnt lgkmcnt(0)
	s_load_dwordx4 s[4:7], s[4:5], 0x0
	s_waitcnt lgkmcnt(0)
	v_mad_u64_u32 v[2:3], s[8:9], s6, v10, 0
	v_mad_u64_u32 v[4:5], s[8:9], s4, v8, 0
	v_mov_b32_e32 v6, v3
	v_mov_b32_e32 v12, v5
	v_mad_u64_u32 v[6:7], s[6:7], s7, v10, v[6:7]
	v_mov_b32_e32 v3, v6
	v_mad_u64_u32 v[6:7], s[6:7], s5, v8, v[12:13]
	v_mov_b32_e32 v5, v6
	v_lshl_add_u64 v[0:1], v[2:3], 2, v[0:1]
	v_lshl_add_u64 v[0:1], v[4:5], 2, v[0:1]
	global_load_dword v2, v[0:1], off
	v_mov_b32_e32 v3, 0x48
	global_load_dword v4, v11, s[12:13]
	v_mad_u64_u32 v[0:1], s[6:7], s4, v3, v[0:1]
	s_mul_i32 s8, s5, 0x48
	v_add_u32_e32 v1, s8, v1
	global_load_dword v5, v[0:1], off
	global_load_dword v6, v11, s[12:13] offset:72
	v_mad_u64_u32 v[0:1], s[6:7], s4, v3, v[0:1]
	v_add_u32_e32 v1, s8, v1
	global_load_dword v7, v[0:1], off
	global_load_dword v12, v11, s[12:13] offset:144
	v_mad_u64_u32 v[0:1], s[6:7], s4, v3, v[0:1]
	;; [unrolled: 4-line block ×11, first 2 shown]
	v_add_u32_e32 v1, s8, v1
	global_load_dword v3, v[0:1], off
	global_load_dword v35, v11, s[12:13] offset:864
	s_waitcnt vmcnt(25)
	v_lshrrev_b32_e32 v0, 16, v2
	s_waitcnt vmcnt(24)
	v_mul_f16_sdwa v1, v4, v2 dst_sel:DWORD dst_unused:UNUSED_PAD src0_sel:WORD_1 src1_sel:DWORD
	v_mul_f16_sdwa v36, v4, v0 dst_sel:DWORD dst_unused:UNUSED_PAD src0_sel:WORD_1 src1_sel:DWORD
	v_fma_f16 v0, v4, v0, -v1
	v_fma_f16 v1, v4, v2, v36
	s_waitcnt vmcnt(23)
	v_lshrrev_b32_e32 v2, 16, v5
	s_waitcnt vmcnt(22)
	v_mul_f16_sdwa v4, v6, v5 dst_sel:DWORD dst_unused:UNUSED_PAD src0_sel:WORD_1 src1_sel:DWORD
	v_pack_b32_f16 v0, v1, v0
	v_mul_f16_sdwa v1, v6, v2 dst_sel:DWORD dst_unused:UNUSED_PAD src0_sel:WORD_1 src1_sel:DWORD
	v_fma_f16 v2, v6, v2, -v4
	ds_write_b32 v31, v0
	v_fma_f16 v0, v6, v5, v1
	s_waitcnt vmcnt(21)
	v_lshrrev_b32_e32 v1, 16, v7
	s_waitcnt vmcnt(20)
	v_mul_f16_sdwa v4, v12, v7 dst_sel:DWORD dst_unused:UNUSED_PAD src0_sel:WORD_1 src1_sel:DWORD
	v_pack_b32_f16 v0, v0, v2
	v_mul_f16_sdwa v2, v12, v1 dst_sel:DWORD dst_unused:UNUSED_PAD src0_sel:WORD_1 src1_sel:DWORD
	v_fma_f16 v1, v12, v1, -v4
	v_fma_f16 v2, v12, v7, v2
	s_waitcnt vmcnt(19)
	v_lshrrev_b32_e32 v4, 16, v13
	v_pack_b32_f16 v1, v2, v1
	ds_write2_b32 v34, v0, v1 offset0:18 offset1:36
	s_waitcnt vmcnt(18)
	v_mul_f16_sdwa v0, v14, v4 dst_sel:DWORD dst_unused:UNUSED_PAD src0_sel:WORD_1 src1_sel:DWORD
	v_mul_f16_sdwa v1, v14, v13 dst_sel:DWORD dst_unused:UNUSED_PAD src0_sel:WORD_1 src1_sel:DWORD
	v_fma_f16 v0, v14, v13, v0
	v_fma_f16 v1, v14, v4, -v1
	v_pack_b32_f16 v0, v0, v1
	s_waitcnt vmcnt(17)
	v_lshrrev_b32_e32 v1, 16, v15
	s_waitcnt vmcnt(16)
	v_mul_f16_sdwa v2, v16, v1 dst_sel:DWORD dst_unused:UNUSED_PAD src0_sel:WORD_1 src1_sel:DWORD
	v_mul_f16_sdwa v4, v16, v15 dst_sel:DWORD dst_unused:UNUSED_PAD src0_sel:WORD_1 src1_sel:DWORD
	v_fma_f16 v2, v16, v15, v2
	v_fma_f16 v1, v16, v1, -v4
	v_pack_b32_f16 v1, v2, v1
	ds_write2_b32 v34, v0, v1 offset0:54 offset1:72
	s_waitcnt vmcnt(15)
	v_lshrrev_b32_e32 v0, 16, v17
	s_waitcnt vmcnt(14)
	v_mul_f16_sdwa v1, v18, v0 dst_sel:DWORD dst_unused:UNUSED_PAD src0_sel:WORD_1 src1_sel:DWORD
	v_mul_f16_sdwa v2, v18, v17 dst_sel:DWORD dst_unused:UNUSED_PAD src0_sel:WORD_1 src1_sel:DWORD
	v_fma_f16 v1, v18, v17, v1
	v_fma_f16 v0, v18, v0, -v2
	v_pack_b32_f16 v0, v1, v0
	s_waitcnt vmcnt(13)
	v_lshrrev_b32_e32 v1, 16, v19
	s_waitcnt vmcnt(12)
	v_mul_f16_sdwa v2, v20, v1 dst_sel:DWORD dst_unused:UNUSED_PAD src0_sel:WORD_1 src1_sel:DWORD
	v_mul_f16_sdwa v4, v20, v19 dst_sel:DWORD dst_unused:UNUSED_PAD src0_sel:WORD_1 src1_sel:DWORD
	v_fma_f16 v2, v20, v19, v2
	v_fma_f16 v1, v20, v1, -v4
	v_pack_b32_f16 v1, v2, v1
	ds_write2_b32 v34, v0, v1 offset0:90 offset1:108
	s_waitcnt vmcnt(11)
	v_lshrrev_b32_e32 v0, 16, v21
	s_waitcnt vmcnt(10)
	v_mul_f16_sdwa v1, v22, v0 dst_sel:DWORD dst_unused:UNUSED_PAD src0_sel:WORD_1 src1_sel:DWORD
	v_mul_f16_sdwa v2, v22, v21 dst_sel:DWORD dst_unused:UNUSED_PAD src0_sel:WORD_1 src1_sel:DWORD
	v_fma_f16 v1, v22, v21, v1
	v_fma_f16 v0, v22, v0, -v2
	v_pack_b32_f16 v0, v1, v0
	s_waitcnt vmcnt(9)
	v_lshrrev_b32_e32 v1, 16, v23
	s_waitcnt vmcnt(8)
	v_mul_f16_sdwa v2, v24, v1 dst_sel:DWORD dst_unused:UNUSED_PAD src0_sel:WORD_1 src1_sel:DWORD
	v_mul_f16_sdwa v4, v24, v23 dst_sel:DWORD dst_unused:UNUSED_PAD src0_sel:WORD_1 src1_sel:DWORD
	v_fma_f16 v2, v24, v23, v2
	v_fma_f16 v1, v24, v1, -v4
	v_pack_b32_f16 v1, v2, v1
	ds_write2_b32 v34, v0, v1 offset0:126 offset1:144
	s_waitcnt vmcnt(7)
	v_lshrrev_b32_e32 v0, 16, v25
	s_waitcnt vmcnt(6)
	v_mul_f16_sdwa v1, v26, v0 dst_sel:DWORD dst_unused:UNUSED_PAD src0_sel:WORD_1 src1_sel:DWORD
	v_mul_f16_sdwa v2, v26, v25 dst_sel:DWORD dst_unused:UNUSED_PAD src0_sel:WORD_1 src1_sel:DWORD
	v_fma_f16 v1, v26, v25, v1
	v_fma_f16 v0, v26, v0, -v2
	v_pack_b32_f16 v0, v1, v0
	s_waitcnt vmcnt(5)
	v_lshrrev_b32_e32 v1, 16, v27
	s_waitcnt vmcnt(4)
	v_mul_f16_sdwa v2, v30, v1 dst_sel:DWORD dst_unused:UNUSED_PAD src0_sel:WORD_1 src1_sel:DWORD
	v_mul_f16_sdwa v4, v30, v27 dst_sel:DWORD dst_unused:UNUSED_PAD src0_sel:WORD_1 src1_sel:DWORD
	v_fma_f16 v2, v30, v27, v2
	v_fma_f16 v1, v30, v1, -v4
	v_pack_b32_f16 v1, v2, v1
	ds_write2_b32 v34, v0, v1 offset0:162 offset1:180
	s_waitcnt vmcnt(3)
	v_lshrrev_b32_e32 v0, 16, v32
	s_waitcnt vmcnt(2)
	v_mul_f16_sdwa v1, v33, v0 dst_sel:DWORD dst_unused:UNUSED_PAD src0_sel:WORD_1 src1_sel:DWORD
	v_mul_f16_sdwa v2, v33, v32 dst_sel:DWORD dst_unused:UNUSED_PAD src0_sel:WORD_1 src1_sel:DWORD
	v_fma_f16 v1, v33, v32, v1
	v_fma_f16 v0, v33, v0, -v2
	v_pack_b32_f16 v0, v1, v0
	s_waitcnt vmcnt(1)
	v_lshrrev_b32_e32 v1, 16, v3
	s_waitcnt vmcnt(0)
	v_mul_f16_sdwa v2, v35, v1 dst_sel:DWORD dst_unused:UNUSED_PAD src0_sel:WORD_1 src1_sel:DWORD
	v_fma_f16 v2, v35, v3, v2
	v_mul_f16_sdwa v3, v35, v3 dst_sel:DWORD dst_unused:UNUSED_PAD src0_sel:WORD_1 src1_sel:DWORD
	v_fma_f16 v1, v35, v1, -v3
	v_pack_b32_f16 v1, v2, v1
	ds_write2_b32 v34, v0, v1 offset0:198 offset1:216
.LBB0_3:
	s_or_b64 exec, exec, s[2:3]
	s_load_dwordx2 s[2:3], s[0:1], 0x20
	v_mov_b32_e32 v0, 0
	s_waitcnt lgkmcnt(0)
	; wave barrier
	s_waitcnt lgkmcnt(0)
                                        ; implicit-def: $vgpr18
                                        ; implicit-def: $vgpr25
                                        ; implicit-def: $vgpr27
                                        ; implicit-def: $vgpr38
                                        ; implicit-def: $vgpr35
                                        ; implicit-def: $vgpr17
                                        ; implicit-def: $vgpr36
                                        ; implicit-def: $vgpr37
                                        ; implicit-def: $vgpr7
                                        ; implicit-def: $vgpr34
                                        ; implicit-def: $vgpr23
                                        ; implicit-def: $vgpr5
                                        ; implicit-def: $vgpr14
                                        ; implicit-def: $vgpr20
                                        ; implicit-def: $vgpr3
                                        ; implicit-def: $vgpr21
                                        ; implicit-def: $vgpr24
                                        ; implicit-def: $vgpr26
	s_and_saveexec_b64 s[4:5], vcc
	s_cbranch_execz .LBB0_5
; %bb.4:
	v_lshlrev_b32_e32 v0, 2, v8
	v_lshl_add_u32 v12, v28, 2, v0
	ds_read2_b32 v[0:1], v12 offset1:18
	ds_read2_b32 v[2:3], v12 offset0:36 offset1:54
	ds_read2_b32 v[4:5], v12 offset0:72 offset1:90
	;; [unrolled: 1-line block ×5, first 2 shown]
	ds_read_b32 v38, v12 offset:864
	s_waitcnt lgkmcnt(0)
	v_lshrrev_b32_e32 v26, 16, v1
	v_lshrrev_b32_e32 v24, 16, v2
	;; [unrolled: 1-line block ×12, first 2 shown]
.LBB0_5:
	s_or_b64 exec, exec, s[4:5]
	v_sub_f16_e32 v72, v26, v35
	v_add_f16_e32 v50, v38, v1
	v_sub_f16_e32 v62, v1, v38
	s_movk_i32 s6, 0x3b15
	v_mul_f16_e32 v39, 0xb770, v72
	v_add_f16_e32 v51, v35, v26
	v_mul_f16_e32 v40, 0xb770, v62
	v_fma_f16 v12, v50, s6, v39
	v_add_f16_e32 v15, v12, v0
	v_fma_f16 v12, v51, s6, -v40
	s_movk_i32 s7, 0x388b
	v_mul_f16_e32 v41, 0xba95, v72
	v_sub_f16_e32 v80, v24, v27
	v_add_f16_sdwa v22, v12, v0 dst_sel:DWORD dst_unused:UNUSED_PAD src0_sel:DWORD src1_sel:WORD_1
	v_fma_f16 v12, v50, s7, v41
	s_movk_i32 s9, 0x2fb7
	v_mul_f16_e32 v43, 0xbbf1, v72
	s_mov_b32 s8, 0xb5ac
	v_add_f16_e32 v53, v19, v2
	v_mul_f16_e32 v42, 0xbb7b, v80
	v_add_f16_e32 v12, v12, v0
	v_fma_f16 v13, v50, s9, v43
	v_fma_f16 v30, v53, s8, v42
	s_mov_b32 s10, 0xbbc4
	v_mul_f16_e32 v45, 0xb3a8, v80
	v_sub_f16_e32 v88, v21, v25
	v_add_f16_e32 v13, v13, v0
	v_add_f16_e32 v12, v30, v12
	v_fma_f16 v30, v53, s10, v45
	v_add_f16_e32 v55, v18, v3
	v_mul_f16_e32 v44, 0xb3a8, v88
	v_add_f16_e32 v13, v30, v13
	v_fma_f16 v30, v55, s10, v44
	v_mul_f16_e32 v47, 0x3b7b, v88
	v_sub_f16_e32 v97, v20, v36
	s_mov_b32 s11, 0xb9fd
	v_add_f16_e32 v12, v30, v12
	v_fma_f16 v30, v55, s8, v47
	v_add_f16_e32 v58, v17, v4
	v_mul_f16_e32 v46, 0x394e, v97
	v_add_f16_e32 v13, v30, v13
	v_fma_f16 v30, v58, s11, v46
	v_mul_f16_e32 v49, 0x3770, v97
	v_sub_f16_e32 v100, v14, v37
	v_add_f16_e32 v12, v30, v12
	v_fma_f16 v30, v58, s6, v49
	v_add_f16_e32 v60, v16, v5
	v_mul_f16_e32 v48, 0x3bf1, v100
	v_add_f16_e32 v13, v30, v13
	v_fma_f16 v30, v60, s9, v48
	v_mul_f16_e32 v57, 0xba95, v100
	v_sub_f16_e32 v105, v23, v34
	v_add_f16_e32 v12, v30, v12
	v_fma_f16 v30, v60, s7, v57
	v_add_f16_e32 v64, v7, v6
	v_mul_f16_e32 v56, 0x3770, v105
	v_add_f16_e32 v30, v30, v13
	v_fma_f16 v13, v64, s6, v56
	v_mul_f16_e32 v63, 0xb94e, v105
	v_add_f16_e32 v13, v13, v12
	v_fma_f16 v12, v64, s11, v63
	v_mul_f16_e32 v52, 0xba95, v80
	v_sub_f16_e32 v103, v2, v19
	v_add_f16_e32 v54, v27, v24
	v_add_f16_e32 v12, v12, v30
	v_fma_f16 v30, v53, s7, v52
	v_mul_f16_e32 v59, 0xba95, v103
	v_add_f16_e32 v15, v30, v15
	v_fma_f16 v30, v54, s7, -v59
	v_mul_f16_e32 v65, 0xba95, v62
	v_add_f16_e32 v22, v30, v22
	v_fma_f16 v30, v51, s7, -v65
	v_mul_f16_e32 v66, 0xbb7b, v103
	v_add_f16_sdwa v30, v30, v0 dst_sel:DWORD dst_unused:UNUSED_PAD src0_sel:DWORD src1_sel:WORD_1
	v_fma_f16 v31, v54, s8, -v66
	v_mul_f16_e32 v73, 0xbbf1, v62
	v_add_f16_e32 v30, v31, v30
	v_fma_f16 v31, v51, s9, -v73
	v_mul_f16_e32 v74, 0xb3a8, v103
	v_add_f16_sdwa v31, v31, v0 dst_sel:DWORD dst_unused:UNUSED_PAD src0_sel:DWORD src1_sel:WORD_1
	v_fma_f16 v32, v54, s10, -v74
	v_mul_f16_e32 v84, 0xbb7b, v72
	v_add_f16_e32 v31, v32, v31
	v_fma_f16 v32, v50, s8, v84
	v_mul_f16_e32 v83, 0x394e, v80
	v_add_f16_e32 v32, v32, v0
	v_fma_f16 v33, v53, s11, v83
	v_mul_f16_e32 v98, 0xbb7b, v62
	v_add_f16_e32 v32, v33, v32
	v_fma_f16 v33, v51, s8, -v98
	v_mul_f16_e32 v96, 0x394e, v103
	v_add_f16_sdwa v33, v33, v0 dst_sel:DWORD dst_unused:UNUSED_PAD src0_sel:DWORD src1_sel:WORD_1
	v_fma_f16 v61, v54, s11, -v96
	v_add_f16_e32 v33, v61, v33
	v_mul_f16_e32 v61, 0xbbf1, v88
	v_fma_f16 v67, v55, s9, v61
	v_sub_f16_e32 v107, v3, v18
	v_add_f16_e32 v15, v67, v15
	v_add_f16_e32 v92, v25, v21
	v_mul_f16_e32 v67, 0xbbf1, v107
	v_fma_f16 v68, v92, s9, -v67
	v_mul_f16_e32 v71, 0xb3a8, v107
	v_add_f16_e32 v22, v68, v22
	v_fma_f16 v68, v92, s10, -v71
	v_mul_f16_e32 v78, 0x3b7b, v107
	v_add_f16_e32 v30, v68, v30
	v_fma_f16 v68, v92, s8, -v78
	v_mul_f16_e32 v86, 0x3770, v88
	v_add_f16_e32 v31, v68, v31
	v_fma_f16 v68, v55, s6, v86
	v_mul_f16_e32 v99, 0x3770, v107
	v_add_f16_e32 v32, v68, v32
	v_fma_f16 v68, v92, s6, -v99
	v_add_f16_e32 v33, v68, v33
	v_mul_f16_e32 v68, 0xbb7b, v97
	v_fma_f16 v69, v58, s8, v68
	v_sub_f16_e32 v108, v4, v17
	v_add_f16_e32 v15, v69, v15
	v_add_f16_e32 v89, v36, v20
	v_mul_f16_e32 v69, 0xbb7b, v108
	v_fma_f16 v70, v89, s8, -v69
	v_mul_f16_e32 v77, 0x394e, v108
	v_add_f16_e32 v22, v70, v22
	v_fma_f16 v70, v89, s11, -v77
	v_mul_f16_e32 v82, 0x3770, v108
	v_add_f16_e32 v30, v70, v30
	v_fma_f16 v70, v89, s6, -v82
	v_mul_f16_e32 v91, 0xbbf1, v97
	v_add_f16_e32 v31, v70, v31
	v_fma_f16 v70, v58, s9, v91
	v_mul_f16_e32 v101, 0xbbf1, v108
	v_add_f16_e32 v32, v70, v32
	;; [unrolled: 20-line block ×3, first 2 shown]
	v_fma_f16 v30, v90, s10, -v104
	v_mul_f16_e32 v76, 0xb3a8, v105
	v_sub_f16_e32 v110, v6, v7
	v_add_f16_e32 v112, v30, v33
	v_fma_f16 v30, v64, s10, v76
	v_add_f16_e32 v94, v34, v23
	v_mul_f16_e32 v79, 0xb3a8, v110
	v_add_f16_e32 v31, v30, v15
	v_fma_f16 v15, v94, s10, -v79
	v_mul_f16_e32 v85, 0x3770, v110
	v_add_f16_e32 v30, v15, v22
	v_fma_f16 v15, v94, s6, -v85
	v_add_f16_e32 v32, v15, v93
	v_mul_f16_e32 v93, 0xb94e, v110
	s_load_dwordx2 s[4:5], s[0:1], 0x8
	v_fma_f16 v15, v94, s11, -v93
	v_mul_f16_e32 v106, 0x3a95, v110
	v_add_f16_e32 v33, v15, v102
	v_fma_f16 v15, v94, s7, -v106
	v_mul_f16_e32 v102, 0x3a95, v105
	v_add_f16_e32 v22, v15, v112
	v_fma_f16 v15, v64, s7, v102
	s_mov_b32 s26, 0xb770
	s_mov_b32 s18, 0xba95
	;; [unrolled: 1-line block ×5, first 2 shown]
	s_movk_i32 s27, 0x394e
	s_movk_i32 s25, 0x3b7b
	;; [unrolled: 1-line block ×3, first 2 shown]
	s_mov_b32 s21, 0xb94e
	s_movk_i32 s20, 0x3bf1
	s_movk_i32 s19, 0x33a8
	s_movk_i32 s23, 0x3a95
	v_add_f16_e32 v15, v15, v111
	s_waitcnt lgkmcnt(0)
	; wave barrier
	s_waitcnt lgkmcnt(0)
	s_and_saveexec_b64 s[0:1], vcc
	s_cbranch_execz .LBB0_7
; %bb.6:
	v_mul_f16_e32 v111, 0xb9fd, v51
	v_fma_f16 v112, v62, s27, v111
	v_mul_f16_e32 v113, 0x2fb7, v54
	v_add_f16_sdwa v112, v112, v0 dst_sel:DWORD dst_unused:UNUSED_PAD src0_sel:DWORD src1_sel:WORD_1
	v_fma_f16 v114, v103, s24, v113
	v_add_f16_e32 v112, v114, v112
	v_mul_f16_e32 v114, 0x388b, v92
	v_fma_f16 v115, v107, s23, v114
	v_add_f16_e32 v112, v115, v112
	v_mul_f16_e32 v115, 0xbbc4, v89
	;; [unrolled: 3-line block ×5, first 2 shown]
	v_fma_f16 v119, v50, s11, v118
	v_mul_f16_e32 v120, 0x3bf1, v80
	v_add_f16_e32 v119, v119, v0
	v_fma_f16 v121, v53, s9, v120
	v_add_f16_e32 v119, v121, v119
	v_mul_f16_e32 v121, 0xba95, v88
	v_fma_f16 v122, v55, s7, v121
	v_add_f16_e32 v119, v122, v119
	v_mul_f16_e32 v122, 0x33a8, v97
	;; [unrolled: 3-line block ×5, first 2 shown]
	v_fma_f16 v126, v62, s19, v125
	v_mul_f16_e32 v127, 0x3b15, v54
	v_add_f16_sdwa v126, v126, v0 dst_sel:DWORD dst_unused:UNUSED_PAD src0_sel:DWORD src1_sel:WORD_1
	v_fma_f16 v128, v103, s26, v127
	v_add_f16_e32 v126, v128, v126
	v_mul_f16_e32 v128, 0xb9fd, v92
	v_fma_f16 v129, v107, s27, v128
	v_add_f16_e32 v126, v129, v126
	v_mul_f16_e32 v129, 0x388b, v89
	;; [unrolled: 3-line block ×4, first 2 shown]
	v_fma_f16 v132, v110, s24, v131
	v_mul_f16_e32 v72, 0xb3a8, v72
	v_add_f16_e32 v126, v132, v126
	v_fma_f16 v132, v50, s10, v72
	v_mul_f16_e32 v80, 0x3770, v80
	v_fma_f16 v72, v50, s10, -v72
	v_fma_f16 v133, v53, s6, v80
	v_mul_f16_e32 v88, 0xb94e, v88
	v_add_f16_e32 v72, v72, v0
	v_fma_f16 v80, v53, s6, -v80
	v_mul_f16_e32 v97, 0x3a95, v97
	v_add_f16_e32 v72, v80, v72
	v_fma_f16 v80, v55, s11, -v88
	;; [unrolled: 3-line block ×4, first 2 shown]
	v_fma_f16 v125, v62, s22, v125
	v_add_f16_e32 v72, v80, v72
	v_fma_f16 v80, v64, s9, -v105
	v_fma_f16 v62, v62, s21, v111
	v_add_f16_e32 v132, v132, v0
	v_add_f16_e32 v72, v80, v72
	v_fma_f16 v80, v103, s20, v113
	v_add_f16_sdwa v62, v62, v0 dst_sel:DWORD dst_unused:UNUSED_PAD src0_sel:DWORD src1_sel:WORD_1
	v_add_f16_e32 v132, v133, v132
	v_fma_f16 v133, v55, s11, v88
	v_add_f16_e32 v62, v80, v62
	v_fma_f16 v80, v107, s18, v114
	;; [unrolled: 2-line block ×5, first 2 shown]
	v_add_f16_sdwa v125, v125, v0 dst_sel:DWORD dst_unused:UNUSED_PAD src0_sel:DWORD src1_sel:WORD_1
	v_fma_f16 v127, v103, s17, v127
	v_add_f16_e32 v62, v88, v62
	v_fma_f16 v100, v109, s17, v116
	v_add_f16_e32 v132, v133, v132
	;; [unrolled: 2-line block ×5, first 2 shown]
	v_fma_f16 v127, v108, s23, v129
	v_mul_f16_e32 v80, 0x3b15, v50
	v_mul_f16_e32 v88, 0x388b, v50
	;; [unrolled: 1-line block ×3, first 2 shown]
	v_add_f16_e32 v62, v105, v62
	v_mul_f16_e32 v105, 0xb5ac, v50
	v_fma_f16 v50, v50, s11, -v118
	v_add_f16_e32 v125, v127, v125
	v_fma_f16 v127, v109, s16, v130
	v_fma_f16 v109, v53, s9, -v120
	v_add_f16_e32 v50, v50, v0
	v_add_f16_e32 v125, v127, v125
	v_fma_f16 v127, v110, s20, v131
	v_add_f16_e32 v50, v109, v50
	v_fma_f16 v110, v55, s7, -v121
	v_add_f16_e32 v50, v110, v50
	v_fma_f16 v111, v58, s10, -v122
	;; [unrolled: 2-line block ×3, first 2 shown]
	v_mul_f16_e32 v97, 0x3b15, v51
	v_mul_f16_e32 v103, 0x388b, v51
	;; [unrolled: 1-line block ×4, first 2 shown]
	v_add_f16_e32 v50, v113, v50
	v_fma_f16 v114, v64, s8, -v124
	v_mul_f16_e32 v109, 0x388b, v54
	v_mul_f16_e32 v111, 0xb5ac, v54
	v_add_f16_e32 v50, v114, v50
	v_mul_f16_e32 v114, 0xbbc4, v54
	v_mul_f16_e32 v54, 0xb9fd, v54
	v_add_f16_e32 v51, v98, v51
	v_add_f16_e32 v54, v96, v54
	v_add_f16_sdwa v51, v51, v0 dst_sel:DWORD dst_unused:UNUSED_PAD src0_sel:DWORD src1_sel:WORD_1
	v_add_f16_e32 v51, v54, v51
	v_mul_f16_e32 v54, 0x3b15, v92
	v_add_f16_e32 v54, v99, v54
	v_add_f16_e32 v51, v54, v51
	v_mul_f16_e32 v54, 0x2fb7, v89
	v_add_f16_e32 v54, v101, v54
	v_add_f16_e32 v51, v54, v51
	v_mul_f16_e32 v54, 0xbbc4, v90
	v_mul_f16_e32 v108, 0x388b, v53
	;; [unrolled: 1-line block ×5, first 2 shown]
	v_add_f16_e32 v54, v104, v54
	v_sub_f16_e32 v84, v105, v84
	v_mul_f16_e32 v98, 0x2fb7, v55
	v_mul_f16_e32 v99, 0xbbc4, v55
	;; [unrolled: 1-line block ×4, first 2 shown]
	v_add_f16_e32 v51, v54, v51
	v_mul_f16_e32 v54, 0x388b, v94
	v_sub_f16_e32 v53, v53, v83
	v_add_f16_e32 v84, v84, v0
	v_add_f16_e32 v54, v106, v54
	v_mul_f16_e32 v106, 0xb5ac, v58
	v_mul_f16_e32 v105, 0xb9fd, v58
	v_add_f16_e32 v53, v53, v84
	v_mul_f16_e32 v84, 0x3b15, v58
	v_mul_f16_e32 v58, 0x2fb7, v58
	v_sub_f16_e32 v55, v55, v86
	v_add_f16_e32 v53, v55, v53
	v_sub_f16_e32 v58, v58, v91
	v_sub_f16_e32 v43, v100, v43
	v_add_f16_e32 v53, v58, v53
	v_mul_f16_e32 v58, 0xbbc4, v60
	v_add_f16_e32 v43, v43, v0
	v_sub_f16_e32 v45, v113, v45
	v_sub_f16_e32 v58, v58, v95
	v_add_f16_e32 v43, v45, v43
	v_sub_f16_e32 v45, v104, v47
	v_sub_f16_e32 v41, v88, v41
	v_mul_f16_e32 v86, 0xb9fd, v60
	v_mul_f16_e32 v91, 0x2fb7, v60
	;; [unrolled: 1-line block ×3, first 2 shown]
	v_add_f16_e32 v53, v58, v53
	v_mul_f16_e32 v58, 0x388b, v64
	v_add_f16_e32 v43, v45, v43
	v_sub_f16_e32 v45, v84, v49
	v_add_f16_e32 v41, v41, v0
	v_sub_f16_e32 v42, v110, v42
	v_sub_f16_e32 v58, v58, v102
	v_mul_f16_e32 v102, 0xbbc4, v64
	v_add_f16_e32 v73, v73, v107
	v_mul_f16_e32 v107, 0x3b15, v64
	v_mul_f16_e32 v64, 0xb9fd, v64
	v_add_f16_e32 v43, v45, v43
	v_sub_f16_e32 v45, v60, v57
	v_add_f16_e32 v41, v42, v41
	v_sub_f16_e32 v42, v99, v44
	;; [unrolled: 2-line block ×4, first 2 shown]
	v_add_f16_e32 v43, v45, v43
	v_add_f16_e32 v45, v65, v103
	v_add_f16_e32 v41, v42, v41
	v_sub_f16_e32 v42, v91, v48
	v_add_f16_e32 v40, v40, v97
	v_sub_f16_e32 v39, v80, v39
	v_add_f16_sdwa v73, v73, v0 dst_sel:DWORD dst_unused:UNUSED_PAD src0_sel:DWORD src1_sel:WORD_1
	v_add_f16_sdwa v45, v45, v0 dst_sel:DWORD dst_unused:UNUSED_PAD src0_sel:DWORD src1_sel:WORD_1
	v_add_f16_e32 v41, v42, v41
	v_sub_f16_e32 v42, v107, v56
	v_add_f16_sdwa v40, v40, v0 dst_sel:DWORD dst_unused:UNUSED_PAD src0_sel:DWORD src1_sel:WORD_1
	v_add_f16_e32 v39, v39, v0
	v_add_f16_e32 v1, v1, v0
	v_add_f16_sdwa v0, v26, v0 dst_sel:DWORD dst_unused:UNUSED_PAD src0_sel:DWORD src1_sel:WORD_1
	v_mul_f16_e32 v96, 0x2fb7, v92
	v_add_f16_e32 v41, v42, v41
	v_add_f16_e32 v42, v59, v109
	;; [unrolled: 1-line block ×5, first 2 shown]
	v_mul_f16_e32 v54, 0xb5ac, v89
	v_add_f16_e32 v40, v42, v40
	v_add_f16_e32 v42, v67, v96
	;; [unrolled: 1-line block ×4, first 2 shown]
	v_mul_f16_e32 v55, 0xb9fd, v90
	v_add_f16_e32 v40, v42, v40
	v_add_f16_e32 v42, v69, v54
	;; [unrolled: 1-line block ×5, first 2 shown]
	v_mul_f16_e32 v58, 0xbbc4, v94
	v_add_f16_e32 v40, v42, v40
	v_add_f16_e32 v42, v75, v55
	v_add_f16_e32 v1, v5, v1
	v_add_f16_e32 v0, v14, v0
	v_add_f16_e32 v40, v42, v40
	v_add_f16_e32 v42, v79, v58
	v_add_f16_e32 v1, v6, v1
	v_add_f16_e32 v0, v23, v0
	v_add_f16_e32 v40, v42, v40
	v_sub_f16_e32 v42, v108, v52
	v_add_f16_e32 v1, v7, v1
	v_add_f16_e32 v0, v34, v0
	v_mul_f16_e32 v101, 0xbbc4, v92
	v_mul_f16_e32 v92, 0xb5ac, v92
	v_add_f16_e32 v74, v74, v114
	v_add_f16_e32 v47, v66, v111
	v_add_f16_e32 v39, v42, v39
	v_sub_f16_e32 v42, v98, v61
	v_add_f16_e32 v1, v16, v1
	v_add_f16_e32 v0, v37, v0
	v_mul_f16_e32 v83, 0xb9fd, v89
	v_mul_f16_e32 v89, 0x3b15, v89
	v_add_f16_e32 v73, v74, v73
	v_add_f16_e32 v74, v78, v92
	v_add_f16_e32 v45, v47, v45
	v_add_f16_e32 v47, v71, v101
	v_add_f16_e32 v39, v42, v39
	v_sub_f16_e32 v42, v106, v68
	v_add_f16_e32 v1, v17, v1
	v_add_f16_e32 v0, v36, v0
	v_mul_f16_e32 v95, 0x2fb7, v90
	v_mul_f16_e32 v90, 0x388b, v90
	v_add_f16_e32 v73, v74, v73
	v_add_f16_e32 v74, v82, v89
	;; [unrolled: 10-line block ×3, first 2 shown]
	v_add_f16_e32 v45, v47, v45
	v_add_f16_e32 v47, v81, v95
	;; [unrolled: 1-line block ×3, first 2 shown]
	v_sub_f16_e32 v42, v102, v76
	v_add_f16_e32 v1, v19, v1
	v_add_f16_e32 v0, v27, v0
	;; [unrolled: 1-line block ×9, first 2 shown]
	v_mul_lo_u16_e32 v2, 13, v8
	v_add_f16_e32 v73, v74, v73
	v_add_f16_e32 v45, v47, v45
	v_add_lshl_u32 v2, v28, v2, 2
	v_pack_b32_f16 v3, v39, v40
	v_pack_b32_f16 v0, v1, v0
	ds_write2_b32 v2, v0, v3 offset1:1
	v_pack_b32_f16 v0, v43, v73
	v_pack_b32_f16 v1, v41, v45
	v_add_f16_e32 v132, v133, v132
	v_add_f16_e32 v125, v127, v125
	ds_write2_b32 v2, v1, v0 offset0:2 offset1:3
	v_pack_b32_f16 v0, v53, v51
	v_pack_b32_f16 v1, v50, v62
	ds_write2_b32 v2, v0, v1 offset0:4 offset1:5
	v_pack_b32_f16 v0, v132, v126
	v_pack_b32_f16 v1, v72, v125
	s_mov_b32 s6, 0x5040100
	ds_write2_b32 v2, v1, v0 offset0:6 offset1:7
	v_pack_b32_f16 v0, v119, v112
	v_perm_b32 v1, v22, v15, s6
	ds_write2_b32 v2, v0, v1 offset0:8 offset1:9
	v_perm_b32 v0, v32, v13, s6
	v_perm_b32 v1, v33, v12, s6
	ds_write2_b32 v2, v1, v0 offset0:10 offset1:11
	v_perm_b32 v0, v30, v31, s6
	ds_write_b32 v2, v0 offset:48
.LBB0_7:
	s_or_b64 exec, exec, s[0:1]
	v_lshl_add_u64 v[16:17], v[8:9], 0, -13
	v_cmp_gt_u16_e64 s[0:1], 13, v8
	s_load_dwordx4 s[8:11], s[2:3], 0x0
	s_waitcnt lgkmcnt(0)
	v_cndmask_b32_e64 v19, v17, 0, s[0:1]
	v_cndmask_b32_e64 v18, v16, v8, s[0:1]
	v_lshlrev_b64 v[0:1], 5, v[18:19]
	v_lshl_add_u64 v[20:21], s[4:5], 0, v[0:1]
	; wave barrier
	global_load_dwordx4 v[0:3], v[20:21], off
	global_load_dwordx4 v[4:7], v[20:21], off offset:16
	v_add_lshl_u32 v34, v28, v8, 2
	ds_read2_b32 v[20:21], v34 offset1:26
	ds_read2_b32 v[24:25], v34 offset0:52 offset1:78
	ds_read2_b32 v[26:27], v34 offset0:104 offset1:130
	;; [unrolled: 1-line block ×3, first 2 shown]
	ds_read_b32 v14, v34 offset:832
	s_waitcnt lgkmcnt(4)
	v_lshrrev_b32_e32 v23, 16, v21
	s_waitcnt lgkmcnt(3)
	v_lshrrev_b32_e32 v35, 16, v24
	v_lshrrev_b32_e32 v38, 16, v25
	s_waitcnt lgkmcnt(2)
	v_lshrrev_b32_e32 v39, 16, v26
	s_waitcnt lgkmcnt(0)
	v_lshrrev_b32_e32 v43, 16, v14
	v_lshrrev_b32_e32 v40, 16, v27
	;; [unrolled: 1-line block ×4, first 2 shown]
	s_movk_i32 s2, 0x3be1
	s_movk_i32 s3, 0x3aee
	;; [unrolled: 1-line block ×3, first 2 shown]
	s_mov_b32 s18, 0xb924
	s_movk_i32 s7, 0x3a21
	v_lshrrev_b32_e32 v19, 16, v20
	s_movk_i32 s16, 0x318f
	s_mov_b32 s17, 0xbb84
	s_waitcnt lgkmcnt(0)
	; wave barrier
	s_waitcnt vmcnt(1)
	v_mul_f16_sdwa v44, v23, v0 dst_sel:DWORD dst_unused:UNUSED_PAD src0_sel:DWORD src1_sel:WORD_1
	v_mul_f16_sdwa v45, v21, v0 dst_sel:DWORD dst_unused:UNUSED_PAD src0_sel:DWORD src1_sel:WORD_1
	s_waitcnt vmcnt(0)
	v_mul_f16_sdwa v58, v43, v7 dst_sel:DWORD dst_unused:UNUSED_PAD src0_sel:DWORD src1_sel:WORD_1
	v_mul_f16_sdwa v59, v14, v7 dst_sel:DWORD dst_unused:UNUSED_PAD src0_sel:DWORD src1_sel:WORD_1
	;; [unrolled: 1-line block ×14, first 2 shown]
	v_fma_f16 v21, v21, v0, -v44
	v_fma_f16 v23, v23, v0, v45
	v_fma_f16 v14, v14, v7, -v58
	v_fma_f16 v43, v43, v7, v59
	;; [unrolled: 2-line block ×8, first 2 shown]
	v_add_f16_e32 v44, v21, v14
	v_add_f16_e32 v45, v23, v43
	v_sub_f16_e32 v21, v21, v14
	v_sub_f16_e32 v23, v23, v43
	v_add_f16_e32 v46, v24, v37
	v_add_f16_e32 v47, v35, v42
	;; [unrolled: 1-line block ×4, first 2 shown]
	v_sub_f16_e32 v24, v24, v37
	v_sub_f16_e32 v35, v35, v42
	;; [unrolled: 1-line block ×6, first 2 shown]
	v_mul_f16_e32 v14, 0x3924, v21
	v_mul_f16_e32 v41, 0x3924, v23
	v_fma_f16 v14, v24, s2, v14
	v_fma_f16 v41, v35, s2, v41
	v_mul_f16_e32 v52, 0xb924, v37
	v_mul_f16_e32 v53, 0xb924, v38
	v_fma_f16 v14, v25, s3, v14
	v_fma_f16 v41, v36, s3, v41
	;; [unrolled: 1-line block ×4, first 2 shown]
	s_mov_b32 s2, 0xbaee
	v_fma_f16 v48, v37, s6, v14
	v_fma_f16 v14, v38, s6, v41
	;; [unrolled: 1-line block ×4, first 2 shown]
	v_add_f16_e32 v56, v37, v21
	v_add_f16_e32 v57, v38, v23
	v_mul_f16_e32 v37, 0x3be1, v37
	v_mul_f16_e32 v38, 0x3be1, v38
	v_fma_f16 v52, v24, s6, v52
	v_fma_f16 v53, v35, s6, v53
	v_sub_f16_e32 v56, v56, v24
	v_sub_f16_e32 v57, v57, v35
	v_fma_f16 v24, v24, s18, -v37
	v_fma_f16 v35, v35, s18, -v38
	v_add_f16_e32 v62, v46, v44
	v_add_f16_e32 v63, v47, v45
	v_fma_f16 v24, v25, s3, v24
	v_fma_f16 v25, v36, s3, v35
	;; [unrolled: 1-line block ×4, first 2 shown]
	v_add_f16_e32 v24, v49, v62
	v_add_f16_e32 v25, v50, v63
	v_add_f16_e32 v41, v26, v27
	v_add_f16_e32 v51, v39, v40
	v_add_f16_e32 v24, v26, v24
	v_add_f16_e32 v25, v39, v25
	v_fma_f16 v42, v44, s7, v20
	v_fma_f16 v43, v45, s7, v19
	v_add_f16_e32 v60, v49, v20
	v_add_f16_e32 v61, v50, v19
	;; [unrolled: 1-line block ×6, first 2 shown]
	v_fma_f16 v42, v46, s16, v42
	v_fma_f16 v43, v47, s16, v43
	;; [unrolled: 1-line block ×4, first 2 shown]
	v_fma_f16 v60, v64, -0.5, v60
	v_fma_f16 v61, v65, -0.5, v61
	v_add_f16_e32 v24, v24, v20
	v_add_f16_e32 v25, v25, v19
	v_fma_f16 v20, v46, s7, v20
	v_fma_f16 v19, v47, s7, v19
	v_fma_f16 v42, v49, -0.5, v42
	v_fma_f16 v43, v50, -0.5, v43
	v_fma_f16 v54, v44, s16, v54
	v_fma_f16 v55, v45, s16, v55
	v_mul_f16_e32 v58, 0x3aee, v56
	v_mul_f16_e32 v59, 0x3aee, v57
	v_fma_f16 v57, v57, s3, v60
	v_fma_f16 v56, v56, s2, v61
	;; [unrolled: 1-line block ×4, first 2 shown]
	v_mov_b32_e32 v26, 0x75
	v_cmp_lt_u16_e64 s[2:3], 12, v8
	v_fma_f16 v42, v41, s17, v42
	v_fma_f16 v43, v51, s17, v43
	v_fma_f16 v54, v49, -0.5, v54
	v_fma_f16 v55, v50, -0.5, v55
	v_fma_f16 v20, v49, -0.5, v20
	v_fma_f16 v19, v50, -0.5, v19
	v_cndmask_b32_e64 v26, 0, v26, s[2:3]
	v_add_f16_e32 v42, v14, v42
	v_sub_f16_e32 v43, v43, v48
	v_fma_f16 v54, v46, s17, v54
	v_fma_f16 v55, v47, s17, v55
	;; [unrolled: 1-line block ×4, first 2 shown]
	v_add_u32_e32 v18, v18, v26
	v_add_f16_e32 v54, v53, v54
	v_sub_f16_e32 v55, v55, v52
	v_add_f16_e32 v20, v23, v20
	v_sub_f16_e32 v19, v19, v21
	v_add_lshl_u32 v36, v28, v18, 2
	v_pack_b32_f16 v18, v24, v25
	v_pack_b32_f16 v24, v42, v43
	v_fma_f16 v23, v23, -2.0, v20
	v_fma_f16 v21, v21, 2.0, v19
	ds_write2_b32 v36, v18, v24 offset1:13
	v_pack_b32_f16 v18, v54, v55
	v_pack_b32_f16 v24, v57, v56
	v_fma_f16 v53, v53, -2.0, v54
	v_fma_f16 v52, v52, 2.0, v55
	v_fma_f16 v59, v59, -2.0, v57
	v_fma_f16 v58, v58, 2.0, v56
	ds_write2_b32 v36, v18, v24 offset0:26 offset1:39
	v_pack_b32_f16 v18, v20, v19
	v_pack_b32_f16 v19, v23, v21
	v_fma_f16 v14, v14, -2.0, v42
	v_fma_f16 v48, v48, 2.0, v43
	ds_write2_b32 v36, v18, v19 offset0:52 offset1:65
	v_pack_b32_f16 v18, v59, v58
	v_pack_b32_f16 v19, v53, v52
	ds_write2_b32 v36, v18, v19 offset0:78 offset1:91
	v_pack_b32_f16 v18, v14, v48
	ds_write_b32 v36, v18 offset:416
	s_waitcnt lgkmcnt(0)
	; wave barrier
	s_waitcnt lgkmcnt(0)
	ds_read2_b32 v[24:25], v34 offset1:26
	ds_read2_b32 v[18:19], v34 offset0:117 offset1:143
	ds_read2_b32 v[26:27], v34 offset0:52 offset1:78
	;; [unrolled: 1-line block ×3, first 2 shown]
	s_and_saveexec_b64 s[2:3], s[0:1]
	s_cbranch_execz .LBB0_9
; %bb.8:
	ds_read2_b32 v[14:15], v34 offset0:104 offset1:221
	s_mov_b64 s[6:7], 0x68
	v_lshl_add_u64 v[16:17], v[8:9], 0, s[6:7]
	s_waitcnt lgkmcnt(0)
	v_lshrrev_b32_e32 v48, 16, v14
	v_lshrrev_b32_e32 v22, 16, v15
.LBB0_9:
	s_or_b64 exec, exec, s[2:3]
	global_load_dword v37, v11, s[4:5] offset:416
	global_load_dword v38, v11, s[4:5] offset:520
	;; [unrolled: 1-line block ×4, first 2 shown]
	v_lshl_add_u64 v[16:17], v[16:17], 2, s[4:5]
	global_load_dword v9, v[16:17], off offset:416
	s_waitcnt lgkmcnt(2)
	v_lshrrev_b32_e32 v16, 16, v18
	v_lshrrev_b32_e32 v17, 16, v19
	s_waitcnt lgkmcnt(0)
	v_lshrrev_b32_e32 v42, 16, v21
	v_lshrrev_b32_e32 v23, 16, v20
	;; [unrolled: 1-line block ×6, first 2 shown]
	v_lshl_add_u32 v35, v8, 2, v29
	v_add_u32_e32 v41, v11, v29
	s_waitcnt vmcnt(4)
	v_mul_f16_sdwa v43, v16, v37 dst_sel:DWORD dst_unused:UNUSED_PAD src0_sel:DWORD src1_sel:WORD_1
	v_mul_f16_sdwa v45, v18, v37 dst_sel:DWORD dst_unused:UNUSED_PAD src0_sel:DWORD src1_sel:WORD_1
	s_waitcnt vmcnt(3)
	v_mul_f16_sdwa v46, v17, v38 dst_sel:DWORD dst_unused:UNUSED_PAD src0_sel:DWORD src1_sel:WORD_1
	v_mul_f16_sdwa v51, v19, v38 dst_sel:DWORD dst_unused:UNUSED_PAD src0_sel:DWORD src1_sel:WORD_1
	;; [unrolled: 3-line block ×3, first 2 shown]
	v_mul_f16_sdwa v53, v20, v39 dst_sel:DWORD dst_unused:UNUSED_PAD src0_sel:DWORD src1_sel:WORD_1
	v_mul_f16_sdwa v55, v21, v40 dst_sel:DWORD dst_unused:UNUSED_PAD src0_sel:DWORD src1_sel:WORD_1
	v_fma_f16 v18, v18, v37, -v43
	v_fma_f16 v16, v16, v37, v45
	v_fma_f16 v19, v19, v38, -v46
	v_fma_f16 v43, v17, v38, v51
	v_fma_f16 v46, v21, v40, -v54
	s_waitcnt vmcnt(0)
	v_mul_f16_sdwa v17, v22, v9 dst_sel:DWORD dst_unused:UNUSED_PAD src0_sel:DWORD src1_sel:WORD_1
	v_mul_f16_sdwa v21, v15, v9 dst_sel:DWORD dst_unused:UNUSED_PAD src0_sel:DWORD src1_sel:WORD_1
	v_fma_f16 v20, v20, v39, -v52
	v_fma_f16 v23, v23, v39, v53
	v_fma_f16 v51, v42, v40, v55
	v_fma_f16 v15, v15, v9, -v17
	v_fma_f16 v52, v22, v9, v21
	v_sub_f16_e32 v17, v24, v18
	v_sub_f16_e32 v42, v44, v16
	;; [unrolled: 1-line block ×8, first 2 shown]
	v_fma_f16 v16, v24, 2.0, -v17
	v_fma_f16 v24, v44, 2.0, -v42
	;; [unrolled: 1-line block ×4, first 2 shown]
	v_sub_f16_e32 v15, v14, v15
	v_sub_f16_e32 v47, v48, v52
	v_fma_f16 v20, v26, 2.0, -v21
	v_fma_f16 v26, v49, 2.0, -v45
	;; [unrolled: 1-line block ×4, first 2 shown]
	v_pack_b32_f16 v25, v17, v42
	v_pack_b32_f16 v49, v19, v43
	v_fma_f16 v14, v14, 2.0, -v15
	v_fma_f16 v48, v48, 2.0, -v47
	v_pack_b32_f16 v52, v16, v24
	v_pack_b32_f16 v53, v18, v44
	;; [unrolled: 1-line block ×4, first 2 shown]
	ds_write2_b32 v35, v25, v49 offset0:117 offset1:143
	v_pack_b32_f16 v25, v20, v26
	v_pack_b32_f16 v49, v22, v27
	ds_write2_b32 v35, v52, v53 offset1:26
	ds_write_b32 v35, v25 offset:208
	ds_write_b32 v41, v50 offset:676
	;; [unrolled: 1-line block ×4, first 2 shown]
	s_and_saveexec_b64 s[2:3], s[0:1]
	s_cbranch_execz .LBB0_11
; %bb.10:
	s_mov_b32 s4, 0x5040100
	v_perm_b32 v25, v48, v14, s4
	v_perm_b32 v49, v47, v15, s4
	ds_write2_b32 v35, v25, v49 offset0:104 offset1:221
.LBB0_11:
	s_or_b64 exec, exec, s[2:3]
	s_waitcnt lgkmcnt(0)
	; wave barrier
	s_waitcnt lgkmcnt(0)
	s_and_saveexec_b64 s[2:3], vcc
	s_cbranch_execz .LBB0_13
; %bb.12:
	global_load_dword v25, v11, s[12:13] offset:936
	s_add_u32 s4, s12, 0x3a8
	s_addc_u32 s5, s13, 0
	global_load_dword v49, v11, s[4:5] offset:72
	global_load_dword v62, v11, s[4:5] offset:144
	global_load_dword v63, v11, s[4:5] offset:216
	global_load_dword v64, v11, s[4:5] offset:288
	global_load_dword v65, v11, s[4:5] offset:360
	global_load_dword v66, v11, s[4:5] offset:432
	global_load_dword v67, v11, s[4:5] offset:504
	global_load_dword v68, v11, s[4:5] offset:576
	global_load_dword v69, v11, s[4:5] offset:648
	global_load_dword v70, v11, s[4:5] offset:720
	global_load_dword v71, v11, s[4:5] offset:792
	ds_read2_b32 v[50:51], v35 offset1:18
	ds_read2_b32 v[52:53], v35 offset0:36 offset1:54
	ds_read2_b32 v[54:55], v35 offset0:72 offset1:90
	;; [unrolled: 1-line block ×5, first 2 shown]
	global_load_dword v72, v11, s[4:5] offset:864
	s_waitcnt lgkmcnt(5)
	v_lshrrev_b32_e32 v73, 16, v50
	v_lshrrev_b32_e32 v74, 16, v51
	s_waitcnt lgkmcnt(4)
	v_lshrrev_b32_e32 v75, 16, v52
	v_lshrrev_b32_e32 v76, 16, v53
	;; [unrolled: 3-line block ×5, first 2 shown]
	s_waitcnt vmcnt(9)
	v_mul_f16_sdwa v85, v76, v63 dst_sel:DWORD dst_unused:UNUSED_PAD src0_sel:DWORD src1_sel:WORD_1
	v_mul_f16_sdwa v86, v53, v63 dst_sel:DWORD dst_unused:UNUSED_PAD src0_sel:DWORD src1_sel:WORD_1
	s_waitcnt vmcnt(8)
	v_mul_f16_sdwa v87, v77, v64 dst_sel:DWORD dst_unused:UNUSED_PAD src0_sel:DWORD src1_sel:WORD_1
	v_mul_f16_sdwa v88, v54, v64 dst_sel:DWORD dst_unused:UNUSED_PAD src0_sel:DWORD src1_sel:WORD_1
	;; [unrolled: 3-line block ×3, first 2 shown]
	v_mul_f16_sdwa v84, v50, v25 dst_sel:DWORD dst_unused:UNUSED_PAD src0_sel:DWORD src1_sel:WORD_1
	v_fma_f16 v50, v50, v25, -v83
	v_fma_f16 v25, v73, v25, v84
	v_pack_b32_f16 v25, v50, v25
	v_mul_f16_sdwa v50, v74, v49 dst_sel:DWORD dst_unused:UNUSED_PAD src0_sel:DWORD src1_sel:WORD_1
	v_mul_f16_sdwa v73, v51, v49 dst_sel:DWORD dst_unused:UNUSED_PAD src0_sel:DWORD src1_sel:WORD_1
	;; [unrolled: 1-line block ×5, first 2 shown]
	s_waitcnt vmcnt(6)
	v_mul_f16_sdwa v91, v79, v66 dst_sel:DWORD dst_unused:UNUSED_PAD src0_sel:DWORD src1_sel:WORD_1
	v_mul_f16_sdwa v92, v56, v66 dst_sel:DWORD dst_unused:UNUSED_PAD src0_sel:DWORD src1_sel:WORD_1
	s_waitcnt vmcnt(5)
	v_mul_f16_sdwa v93, v80, v67 dst_sel:DWORD dst_unused:UNUSED_PAD src0_sel:DWORD src1_sel:WORD_1
	v_mul_f16_sdwa v94, v57, v67 dst_sel:DWORD dst_unused:UNUSED_PAD src0_sel:DWORD src1_sel:WORD_1
	;; [unrolled: 3-line block ×4, first 2 shown]
	v_fma_f16 v50, v51, v49, -v50
	v_fma_f16 v49, v74, v49, v73
	v_fma_f16 v51, v52, v62, -v83
	v_fma_f16 v52, v75, v62, v84
	;; [unrolled: 2-line block ×9, first 2 shown]
	v_pack_b32_f16 v49, v50, v49
	v_pack_b32_f16 v50, v51, v52
	;; [unrolled: 1-line block ×9, first 2 shown]
	ds_write2_b32 v35, v25, v49 offset1:18
	ds_write2_b32 v35, v50, v51 offset0:36 offset1:54
	ds_write2_b32 v35, v52, v53 offset0:72 offset1:90
	;; [unrolled: 1-line block ×4, first 2 shown]
	s_waitcnt lgkmcnt(5)
	v_lshrrev_b32_e32 v25, 16, v60
	s_waitcnt vmcnt(2)
	v_mul_f16_sdwa v49, v25, v70 dst_sel:DWORD dst_unused:UNUSED_PAD src0_sel:DWORD src1_sel:WORD_1
	v_mul_f16_sdwa v50, v60, v70 dst_sel:DWORD dst_unused:UNUSED_PAD src0_sel:DWORD src1_sel:WORD_1
	v_fma_f16 v49, v60, v70, -v49
	v_fma_f16 v25, v25, v70, v50
	ds_read_b32 v51, v35 offset:864
	v_pack_b32_f16 v25, v49, v25
	v_lshrrev_b32_e32 v49, 16, v61
	s_waitcnt vmcnt(1)
	v_mul_f16_sdwa v50, v49, v71 dst_sel:DWORD dst_unused:UNUSED_PAD src0_sel:DWORD src1_sel:WORD_1
	v_mul_f16_sdwa v52, v61, v71 dst_sel:DWORD dst_unused:UNUSED_PAD src0_sel:DWORD src1_sel:WORD_1
	v_fma_f16 v50, v61, v71, -v50
	v_fma_f16 v49, v49, v71, v52
	v_pack_b32_f16 v49, v50, v49
	ds_write2_b32 v35, v25, v49 offset0:180 offset1:198
	s_waitcnt lgkmcnt(1)
	v_lshrrev_b32_e32 v25, 16, v51
	s_waitcnt vmcnt(0)
	v_mul_f16_sdwa v49, v25, v72 dst_sel:DWORD dst_unused:UNUSED_PAD src0_sel:DWORD src1_sel:WORD_1
	v_mul_f16_sdwa v50, v51, v72 dst_sel:DWORD dst_unused:UNUSED_PAD src0_sel:DWORD src1_sel:WORD_1
	v_fma_f16 v49, v51, v72, -v49
	v_fma_f16 v25, v25, v72, v50
	v_pack_b32_f16 v25, v49, v25
	ds_write_b32 v35, v25 offset:864
.LBB0_13:
	s_or_b64 exec, exec, s[2:3]
	s_waitcnt lgkmcnt(0)
	; wave barrier
	s_waitcnt lgkmcnt(0)
	s_and_saveexec_b64 s[2:3], vcc
	s_cbranch_execz .LBB0_15
; %bb.14:
	ds_read2_b32 v[16:17], v35 offset1:18
	ds_read2_b32 v[18:19], v35 offset0:36 offset1:54
	ds_read2_b32 v[20:21], v35 offset0:72 offset1:90
	;; [unrolled: 1-line block ×5, first 2 shown]
	ds_read_b32 v31, v35 offset:864
	s_waitcnt lgkmcnt(6)
	v_lshrrev_b32_e32 v24, 16, v16
	v_lshrrev_b32_e32 v42, 16, v17
	s_waitcnt lgkmcnt(5)
	v_lshrrev_b32_e32 v44, 16, v18
	v_lshrrev_b32_e32 v43, 16, v19
	;; [unrolled: 3-line block ×6, first 2 shown]
	s_waitcnt lgkmcnt(0)
	v_lshrrev_b32_e32 v30, 16, v31
.LBB0_15:
	s_or_b64 exec, exec, s[2:3]
	v_sub_f16_e32 v62, v42, v30
	v_add_f16_e32 v50, v31, v17
	v_add_f16_e32 v64, v30, v42
	s_mov_b32 s4, 0xb5ac
	v_mul_f16_e32 v74, 0xbb7b, v62
	v_sub_f16_e32 v63, v44, v32
	v_sub_f16_e32 v52, v17, v31
	s_mov_b32 s6, 0xbb7b
	v_mul_f16_e32 v76, 0xb5ac, v64
	v_fma_f16 v25, v50, s4, -v74
	v_add_f16_e32 v51, v13, v18
	v_add_f16_e32 v66, v32, v44
	s_mov_b32 s5, 0xb9fd
	v_mul_f16_e32 v75, 0x394e, v63
	v_add_f16_e32 v25, v16, v25
	v_fma_f16 v49, v52, s6, v76
	v_sub_f16_e32 v54, v18, v13
	s_movk_i32 s18, 0x394e
	v_mul_f16_e32 v78, 0xb9fd, v66
	v_fma_f16 v53, v51, s5, -v75
	v_add_f16_e32 v49, v24, v49
	v_add_f16_e32 v25, v53, v25
	v_fma_f16 v53, v54, s18, v78
	v_sub_f16_e32 v65, v43, v33
	v_add_f16_e32 v49, v53, v49
	v_add_f16_e32 v53, v12, v19
	;; [unrolled: 1-line block ×3, first 2 shown]
	s_movk_i32 s7, 0x3b15
	v_mul_f16_e32 v77, 0x3770, v65
	v_sub_f16_e32 v56, v19, v12
	s_movk_i32 s20, 0x3770
	v_mul_f16_e32 v80, 0x3b15, v68
	v_fma_f16 v55, v53, s7, -v77
	v_add_f16_e32 v25, v55, v25
	v_fma_f16 v55, v56, s20, v80
	v_sub_f16_e32 v67, v26, v47
	v_add_f16_e32 v49, v55, v49
	v_add_f16_e32 v55, v15, v20
	;; [unrolled: 1-line block ×3, first 2 shown]
	s_movk_i32 s16, 0x2fb7
	v_mul_f16_e32 v79, 0xbbf1, v67
	v_sub_f16_e32 v58, v20, v15
	s_mov_b32 s19, 0xbbf1
	v_mul_f16_e32 v82, 0x2fb7, v70
	v_fma_f16 v57, v55, s16, -v79
	v_add_f16_e32 v25, v57, v25
	v_fma_f16 v57, v58, s19, v82
	v_sub_f16_e32 v69, v45, v48
	v_add_f16_e32 v49, v57, v49
	v_add_f16_e32 v57, v14, v21
	;; [unrolled: 1-line block ×3, first 2 shown]
	s_mov_b32 s17, 0xbbc4
	v_mul_f16_e32 v81, 0x33a8, v69
	v_sub_f16_e32 v60, v21, v14
	s_movk_i32 s26, 0x33a8
	v_mul_f16_e32 v84, 0xbbc4, v72
	v_fma_f16 v59, v57, s17, -v81
	v_add_f16_e32 v25, v59, v25
	v_fma_f16 v59, v60, s26, v84
	v_sub_f16_e32 v71, v27, v46
	v_add_f16_e32 v49, v59, v49
	v_add_f16_e32 v59, v23, v22
	;; [unrolled: 1-line block ×3, first 2 shown]
	s_movk_i32 s21, 0x388b
	v_mul_f16_e32 v83, 0x3a95, v71
	v_sub_f16_e32 v61, v22, v23
	s_movk_i32 s27, 0x3a95
	v_mul_f16_e32 v85, 0x388b, v73
	v_fma_f16 v86, v59, s21, -v83
	v_add_f16_e32 v25, v86, v25
	v_fma_f16 v86, v61, s27, v85
	v_add_f16_e32 v49, v86, v49
	s_waitcnt lgkmcnt(0)
	; wave barrier
	s_and_saveexec_b64 s[2:3], vcc
	s_cbranch_execz .LBB0_17
; %bb.16:
	v_mul_f16_e32 v86, 0xb5ac, v50
	v_mul_f16_e32 v87, 0xbb7b, v52
	;; [unrolled: 1-line block ×3, first 2 shown]
	v_add_f16_e32 v74, v86, v74
	v_mul_f16_e32 v89, 0x394e, v54
	v_mul_f16_e32 v90, 0x3b15, v53
	v_sub_f16_e32 v76, v76, v87
	v_add_f16_e32 v74, v16, v74
	v_add_f16_e32 v75, v88, v75
	v_mul_f16_e32 v91, 0x3770, v56
	v_mul_f16_e32 v92, 0x2fb7, v55
	v_add_f16_e32 v76, v24, v76
	v_sub_f16_e32 v78, v78, v89
	v_add_f16_e32 v74, v75, v74
	v_add_f16_e32 v75, v90, v77
	v_mul_f16_e32 v93, 0xbbf1, v58
	v_mul_f16_e32 v94, 0xbbc4, v57
	v_add_f16_e32 v76, v78, v76
	;; [unrolled: 6-line block ×3, first 2 shown]
	v_sub_f16_e32 v78, v82, v93
	v_add_f16_e32 v74, v75, v74
	v_add_f16_e32 v75, v94, v81
	v_mul_f16_e32 v97, 0x3a95, v61
	v_add_f16_e32 v76, v78, v76
	v_sub_f16_e32 v78, v84, v95
	v_add_f16_e32 v74, v75, v74
	v_add_f16_e32 v75, v96, v83
	s_movk_i32 s24, 0x3bf1
	v_add_f16_e32 v76, v78, v76
	v_sub_f16_e32 v78, v85, v97
	v_add_f16_e32 v74, v75, v74
	v_mul_f16_e32 v75, 0x2fb7, v64
	v_add_f16_e32 v76, v78, v76
	v_fma_f16 v77, v52, s24, v75
	v_mul_f16_e32 v78, 0xbbc4, v66
	v_add_f16_e32 v77, v24, v77
	v_fma_f16 v79, v54, s26, v78
	v_add_f16_e32 v77, v79, v77
	v_mul_f16_e32 v79, 0xb5ac, v68
	v_fma_f16 v80, v56, s6, v79
	v_add_f16_e32 v77, v80, v77
	v_mul_f16_e32 v80, 0x3b15, v70
	s_mov_b32 s28, 0xb770
	v_fma_f16 v81, v58, s28, v80
	v_add_f16_e32 v77, v81, v77
	v_mul_f16_e32 v81, 0x388b, v72
	v_fma_f16 v82, v60, s27, v81
	v_add_f16_e32 v77, v82, v77
	v_mul_f16_e32 v82, 0xb9fd, v73
	;; [unrolled: 3-line block ×3, first 2 shown]
	v_add_f16_e32 v17, v17, v16
	v_mul_f16_e32 v98, 0xb94e, v52
	v_fma_f16 v84, v50, s16, v83
	v_mul_f16_e32 v85, 0xb3a8, v63
	v_add_f16_e32 v17, v18, v17
	v_fma_f16 v99, v64, s5, v98
	v_mul_f16_e32 v100, 0x3bf1, v54
	v_add_f16_e32 v84, v16, v84
	v_fma_f16 v86, v51, s17, v85
	v_add_f16_e32 v17, v19, v17
	v_add_f16_e32 v99, v24, v99
	v_fma_f16 v101, v66, s16, v100
	v_add_f16_e32 v84, v86, v84
	v_mul_f16_e32 v86, 0x3b7b, v65
	v_add_f16_e32 v17, v20, v17
	v_add_f16_e32 v99, v101, v99
	v_mul_f16_e32 v101, 0xba95, v56
	v_fma_f16 v87, v53, s4, v86
	v_add_f16_e32 v17, v21, v17
	v_fma_f16 v102, v68, s21, v101
	v_add_f16_e32 v84, v87, v84
	v_mul_f16_e32 v87, 0x3770, v67
	v_add_f16_e32 v17, v22, v17
	v_add_f16_e32 v99, v102, v99
	v_mul_f16_e32 v102, 0x33a8, v58
	v_fma_f16 v88, v55, s7, v87
	;; [unrolled: 8-line block ×3, first 2 shown]
	v_add_f16_e32 v14, v15, v14
	v_fma_f16 v104, v72, s7, v103
	s_mov_b32 s25, 0xb3a8
	v_add_f16_e32 v84, v89, v84
	v_mul_f16_e32 v89, 0xb94e, v71
	v_add_f16_e32 v12, v12, v14
	v_fma_f16 v14, v52, s19, v75
	v_add_f16_e32 v99, v104, v99
	v_mul_f16_e32 v104, 0xbb7b, v61
	s_movk_i32 s29, 0x3b7b
	v_fma_f16 v90, v59, s5, v89
	v_add_f16_e32 v14, v24, v14
	v_fma_f16 v15, v54, s25, v78
	v_fma_f16 v105, v73, s4, v104
	v_fma_f16 v98, v64, s5, -v98
	v_add_f16_e32 v84, v90, v84
	v_mul_f16_e32 v90, 0x388b, v64
	v_add_f16_e32 v14, v15, v14
	v_fma_f16 v15, v56, s29, v79
	s_mov_b32 s23, 0xba95
	v_add_f16_e32 v99, v105, v99
	v_mul_f16_e32 v105, 0xb94e, v62
	v_add_f16_e32 v98, v24, v98
	v_fma_f16 v100, v66, s16, -v100
	v_fma_f16 v91, v52, s27, v90
	v_mul_f16_e32 v92, 0xb5ac, v66
	v_add_f16_e32 v14, v15, v14
	v_fma_f16 v15, v58, s20, v80
	s_mov_b32 s22, 0xb94e
	v_fma_f16 v106, v50, s5, -v105
	v_mul_f16_e32 v107, 0x3bf1, v63
	v_add_f16_e32 v98, v100, v98
	v_fma_f16 v100, v68, s21, -v101
	v_add_f16_e32 v91, v24, v91
	v_fma_f16 v93, v54, s29, v92
	v_add_f16_e32 v14, v15, v14
	v_fma_f16 v15, v60, s23, v81
	v_add_f16_e32 v106, v16, v106
	v_fma_f16 v108, v51, s16, -v107
	v_add_f16_e32 v98, v100, v98
	v_fma_f16 v100, v70, s17, -v102
	v_add_f16_e32 v91, v93, v91
	v_mul_f16_e32 v93, 0xbbc4, v68
	v_add_f16_e32 v14, v15, v14
	v_fma_f16 v15, v61, s22, v82
	v_add_f16_e32 v106, v108, v106
	v_mul_f16_e32 v108, 0xba95, v65
	v_add_f16_e32 v98, v100, v98
	v_fma_f16 v100, v72, s7, -v103
	v_fma_f16 v94, v56, s26, v93
	v_add_f16_e32 v14, v15, v14
	v_fma_f16 v15, v50, s16, -v83
	v_fma_f16 v109, v53, s21, -v108
	v_add_f16_e32 v98, v100, v98
	v_fma_f16 v100, v73, s4, -v104
	v_add_f16_e32 v91, v94, v91
	v_mul_f16_e32 v94, 0xb9fd, v70
	v_add_f16_e32 v15, v16, v15
	v_fma_f16 v17, v51, s17, -v85
	v_add_f16_e32 v106, v109, v106
	v_mul_f16_e32 v109, 0x33a8, v67
	v_add_f16_e32 v98, v100, v98
	v_fma_f16 v100, v50, s5, v105
	v_fma_f16 v95, v58, s22, v94
	v_add_f16_e32 v15, v17, v15
	v_fma_f16 v17, v53, s4, -v86
	v_fma_f16 v110, v55, s17, -v109
	v_add_f16_e32 v100, v16, v100
	v_fma_f16 v101, v51, s16, v107
	v_add_f16_e32 v91, v95, v91
	v_mul_f16_e32 v95, 0x2fb7, v72
	v_add_f16_e32 v15, v17, v15
	v_fma_f16 v17, v55, s7, -v87
	v_add_f16_e32 v106, v110, v106
	v_mul_f16_e32 v110, 0x3770, v69
	v_add_f16_e32 v100, v101, v100
	v_fma_f16 v101, v53, s21, v108
	v_fma_f16 v96, v60, s19, v95
	v_add_f16_e32 v15, v17, v15
	v_fma_f16 v17, v57, s21, -v88
	v_fma_f16 v111, v57, s7, -v110
	v_add_f16_e32 v100, v101, v100
	v_fma_f16 v101, v55, s17, v109
	v_add_f16_e32 v91, v96, v91
	v_mul_f16_e32 v96, 0x3b15, v73
	v_add_f16_e32 v15, v17, v15
	v_fma_f16 v17, v59, s5, -v89
	v_add_f16_e32 v106, v111, v106
	v_mul_f16_e32 v111, 0xbb7b, v71
	v_add_f16_e32 v100, v101, v100
	v_fma_f16 v101, v57, s7, v110
	v_fma_f16 v97, v61, s28, v96
	v_add_f16_e32 v15, v17, v15
	v_fma_f16 v17, v52, s23, v90
	v_fma_f16 v112, v59, s4, -v111
	v_add_f16_e32 v100, v101, v100
	v_fma_f16 v101, v59, s4, v111
	v_add_f16_e32 v91, v97, v91
	v_mul_f16_e32 v97, 0xba95, v62
	v_add_f16_e32 v17, v24, v17
	v_fma_f16 v18, v54, s6, v92
	v_add_f16_e32 v106, v112, v106
	v_mul_f16_e32 v112, 0xb3a8, v52
	v_add_f16_e32 v100, v101, v100
	v_fma_f16 v101, v50, s21, v97
	v_mul_f16_e32 v102, 0xbb7b, v63
	v_add_f16_e32 v17, v18, v17
	v_fma_f16 v18, v56, s25, v93
	v_fma_f16 v113, v64, s17, v112
	v_mul_f16_e32 v114, 0x3770, v54
	v_add_f16_e32 v101, v16, v101
	v_fma_f16 v103, v51, s4, v102
	v_add_f16_e32 v17, v18, v17
	v_fma_f16 v18, v58, s18, v94
	;; [unrolled: 2-line block ×3, first 2 shown]
	v_add_f16_e32 v101, v103, v101
	v_mul_f16_e32 v103, 0xb3a8, v65
	v_add_f16_e32 v17, v18, v17
	v_fma_f16 v18, v60, s24, v95
	v_add_f16_e32 v113, v115, v113
	v_mul_f16_e32 v115, 0xb94e, v56
	v_fma_f16 v104, v53, s17, v103
	v_add_f16_e32 v17, v18, v17
	v_fma_f16 v18, v61, s20, v96
	v_fma_f16 v116, v68, s5, v115
	v_add_f16_e32 v101, v104, v101
	v_mul_f16_e32 v104, 0x394e, v67
	v_add_f16_e32 v17, v18, v17
	v_fma_f16 v18, v50, s21, -v97
	v_add_f16_e32 v113, v116, v113
	v_mul_f16_e32 v116, 0x3a95, v58
	v_fma_f16 v105, v55, s5, v104
	v_add_f16_e32 v18, v16, v18
	v_fma_f16 v19, v51, s4, -v102
	v_fma_f16 v117, v70, s21, v116
	v_add_f16_e32 v101, v105, v101
	v_mul_f16_e32 v105, 0x3bf1, v69
	v_add_f16_e32 v18, v19, v18
	v_fma_f16 v19, v53, s17, -v103
	v_add_f16_e32 v113, v117, v113
	v_mul_f16_e32 v117, 0xbb7b, v60
	v_fma_f16 v107, v57, s16, v105
	v_add_f16_e32 v18, v19, v18
	v_fma_f16 v19, v55, s5, -v104
	v_fma_f16 v118, v72, s4, v117
	v_add_f16_e32 v101, v107, v101
	v_mul_f16_e32 v107, 0x3770, v71
	v_add_f16_e32 v18, v19, v18
	v_fma_f16 v19, v57, s16, -v105
	v_add_f16_e32 v113, v118, v113
	v_mul_f16_e32 v118, 0x3bf1, v61
	v_fma_f16 v112, v64, s17, -v112
	v_fma_f16 v108, v59, s7, v107
	v_mul_f16_e32 v64, 0x3b15, v64
	v_add_f16_e32 v18, v19, v18
	v_fma_f16 v19, v59, s7, -v107
	v_fma_f16 v119, v73, s16, v118
	v_add_f16_e32 v112, v24, v112
	v_fma_f16 v114, v66, s7, -v114
	v_add_f16_e32 v101, v108, v101
	v_fma_f16 v108, v52, s20, v64
	v_mul_f16_e32 v66, 0x388b, v66
	v_add_f16_e32 v18, v19, v18
	v_fma_f16 v19, v52, s28, v64
	v_add_f16_e32 v113, v119, v113
	v_mul_f16_e32 v119, 0xb3a8, v62
	v_add_f16_e32 v112, v114, v112
	v_fma_f16 v114, v68, s5, -v115
	v_add_f16_e32 v108, v24, v108
	v_fma_f16 v109, v54, s27, v66
	v_mul_f16_e32 v68, 0x2fb7, v68
	v_add_f16_e32 v12, v13, v12
	v_add_f16_e32 v13, v42, v24
	;; [unrolled: 1-line block ×3, first 2 shown]
	v_fma_f16 v20, v54, s23, v66
	v_fma_f16 v120, v50, s17, -v119
	v_mul_f16_e32 v121, 0x3770, v63
	v_add_f16_e32 v112, v114, v112
	v_fma_f16 v114, v70, s21, -v116
	v_add_f16_e32 v108, v109, v108
	v_fma_f16 v109, v56, s24, v68
	v_mul_f16_e32 v70, 0xb5ac, v70
	v_add_f16_e32 v13, v44, v13
	v_add_f16_e32 v19, v20, v19
	v_fma_f16 v20, v56, s19, v68
	v_add_f16_e32 v120, v16, v120
	v_fma_f16 v122, v51, s7, -v121
	v_add_f16_e32 v112, v114, v112
	v_fma_f16 v114, v72, s4, -v117
	v_add_f16_e32 v108, v109, v108
	v_fma_f16 v109, v58, s29, v70
	v_mul_f16_e32 v72, 0xb9fd, v72
	v_add_f16_e32 v13, v43, v13
	v_add_f16_e32 v19, v20, v19
	v_fma_f16 v20, v58, s6, v70
	v_add_f16_e32 v120, v122, v120
	v_mul_f16_e32 v122, 0xb94e, v65
	v_add_f16_e32 v112, v114, v112
	v_fma_f16 v114, v73, s16, -v118
	v_add_f16_e32 v108, v109, v108
	v_fma_f16 v109, v60, s18, v72
	v_mul_f16_e32 v73, 0xbbc4, v73
	v_add_f16_e32 v13, v26, v13
	v_add_f16_e32 v19, v20, v19
	v_fma_f16 v20, v60, s22, v72
	v_fma_f16 v123, v53, s5, -v122
	v_add_f16_e32 v108, v109, v108
	v_fma_f16 v109, v61, s26, v73
	v_mul_f16_e32 v62, 0xb770, v62
	v_add_f16_e32 v13, v45, v13
	v_add_f16_e32 v19, v20, v19
	v_fma_f16 v20, v61, s25, v73
	v_add_f16_e32 v120, v123, v120
	v_mul_f16_e32 v123, 0x3a95, v67
	v_add_f16_e32 v112, v114, v112
	v_fma_f16 v114, v50, s17, v119
	v_add_f16_e32 v108, v109, v108
	v_fma_f16 v109, v50, s7, v62
	v_mul_f16_e32 v63, 0xba95, v63
	v_add_f16_e32 v13, v27, v13
	v_add_f16_e32 v19, v20, v19
	v_fma_f16 v20, v50, s7, -v62
	v_fma_f16 v124, v55, s21, -v123
	v_add_f16_e32 v114, v16, v114
	v_add_f16_e32 v109, v16, v109
	v_fma_f16 v110, v51, s21, v63
	v_mul_f16_e32 v65, 0xbbf1, v65
	v_add_f16_e32 v13, v46, v13
	v_add_f16_e32 v16, v16, v20
	v_fma_f16 v20, v51, s21, -v63
	v_add_f16_e32 v120, v124, v120
	v_mul_f16_e32 v124, 0xbb7b, v69
	v_add_f16_e32 v109, v110, v109
	v_fma_f16 v110, v53, s16, v65
	v_mul_f16_e32 v67, 0xbb7b, v67
	v_add_f16_e32 v13, v48, v13
	v_add_f16_e32 v16, v20, v16
	v_fma_f16 v20, v53, s16, -v65
	v_fma_f16 v125, v57, s4, -v124
	v_add_f16_e32 v109, v110, v109
	v_fma_f16 v110, v55, s4, v67
	v_mul_f16_e32 v69, 0xb94e, v69
	v_add_f16_e32 v13, v47, v13
	v_add_f16_e32 v16, v20, v16
	v_fma_f16 v20, v55, s4, -v67
	v_add_f16_e32 v120, v125, v120
	v_mul_f16_e32 v125, 0x3bf1, v71
	v_fma_f16 v115, v51, s7, v121
	v_add_f16_e32 v109, v110, v109
	v_fma_f16 v110, v57, s5, v69
	v_mul_f16_e32 v71, 0xb3a8, v71
	v_add_f16_e32 v13, v33, v13
	v_add_f16_e32 v16, v20, v16
	v_fma_f16 v20, v57, s5, -v69
	v_add_f16_e32 v114, v115, v114
	v_fma_f16 v115, v53, s5, v122
	v_add_f16_e32 v109, v110, v109
	v_fma_f16 v110, v59, s17, v71
	v_add_f16_e32 v13, v32, v13
	v_add_f16_e32 v16, v20, v16
	v_fma_f16 v20, v59, s17, -v71
	v_add_f16_e32 v114, v115, v114
	v_fma_f16 v115, v55, s21, v123
	v_add_f16_e32 v109, v110, v109
	v_add_f16_e32 v12, v31, v12
	v_add_f16_e32 v13, v30, v13
	v_add_f16_e32 v16, v20, v16
	v_mul_lo_u16_e32 v20, 13, v8
	v_add_f16_e32 v114, v115, v114
	v_fma_f16 v115, v57, s4, v124
	v_lshl_add_u32 v20, v20, 2, v29
	v_pack_b32_f16 v21, v109, v108
	v_pack_b32_f16 v12, v12, v13
	v_fma_f16 v126, v59, s16, -v125
	v_add_f16_e32 v114, v115, v114
	v_fma_f16 v115, v59, s16, v125
	ds_write2_b32 v20, v12, v21 offset1:1
	v_pack_b32_f16 v12, v84, v77
	v_pack_b32_f16 v13, v101, v91
	v_add_f16_e32 v120, v126, v120
	v_add_f16_e32 v114, v115, v114
	ds_write2_b32 v20, v13, v12 offset0:2 offset1:3
	v_pack_b32_f16 v12, v74, v76
	v_pack_b32_f16 v13, v100, v98
	ds_write2_b32 v20, v12, v13 offset0:4 offset1:5
	v_pack_b32_f16 v12, v120, v113
	v_pack_b32_f16 v13, v114, v112
	s_mov_b32 s4, 0x5040100
	ds_write2_b32 v20, v13, v12 offset0:6 offset1:7
	v_pack_b32_f16 v12, v106, v99
	v_perm_b32 v13, v49, v25, s4
	ds_write2_b32 v20, v12, v13 offset0:8 offset1:9
	v_pack_b32_f16 v12, v18, v17
	v_pack_b32_f16 v13, v15, v14
	ds_write2_b32 v20, v13, v12 offset0:10 offset1:11
	v_pack_b32_f16 v12, v16, v19
	ds_write_b32 v20, v12 offset:48
.LBB0_17:
	s_or_b64 exec, exec, s[2:3]
	s_waitcnt lgkmcnt(0)
	; wave barrier
	s_waitcnt lgkmcnt(0)
	ds_read2_b32 v[14:15], v34 offset1:26
	ds_read2_b32 v[12:13], v34 offset0:52 offset1:78
	ds_read2_b32 v[16:17], v34 offset0:104 offset1:130
	;; [unrolled: 1-line block ×3, first 2 shown]
	ds_read_b32 v24, v34 offset:832
	s_waitcnt lgkmcnt(4)
	v_lshrrev_b32_e32 v21, 16, v15
	v_mul_f16_sdwa v32, v0, v21 dst_sel:DWORD dst_unused:UNUSED_PAD src0_sel:WORD_1 src1_sel:DWORD
	s_waitcnt lgkmcnt(3)
	v_lshrrev_b32_e32 v22, 16, v12
	v_fma_f16 v32, v0, v15, v32
	v_mul_f16_sdwa v15, v0, v15 dst_sel:DWORD dst_unused:UNUSED_PAD src0_sel:WORD_1 src1_sel:DWORD
	v_fma_f16 v0, v0, v21, -v15
	v_mul_f16_sdwa v15, v1, v22 dst_sel:DWORD dst_unused:UNUSED_PAD src0_sel:WORD_1 src1_sel:DWORD
	v_lshrrev_b32_e32 v23, 16, v13
	v_fma_f16 v15, v1, v12, v15
	v_mul_f16_sdwa v12, v1, v12 dst_sel:DWORD dst_unused:UNUSED_PAD src0_sel:WORD_1 src1_sel:DWORD
	v_fma_f16 v1, v1, v22, -v12
	v_mul_f16_sdwa v12, v2, v23 dst_sel:DWORD dst_unused:UNUSED_PAD src0_sel:WORD_1 src1_sel:DWORD
	s_waitcnt lgkmcnt(2)
	v_lshrrev_b32_e32 v26, 16, v16
	v_fma_f16 v12, v2, v13, v12
	v_mul_f16_sdwa v13, v2, v13 dst_sel:DWORD dst_unused:UNUSED_PAD src0_sel:WORD_1 src1_sel:DWORD
	v_fma_f16 v2, v2, v23, -v13
	v_mul_f16_sdwa v13, v3, v26 dst_sel:DWORD dst_unused:UNUSED_PAD src0_sel:WORD_1 src1_sel:DWORD
	v_lshrrev_b32_e32 v27, 16, v17
	v_fma_f16 v13, v3, v16, v13
	v_mul_f16_sdwa v16, v3, v16 dst_sel:DWORD dst_unused:UNUSED_PAD src0_sel:WORD_1 src1_sel:DWORD
	v_fma_f16 v3, v3, v26, -v16
	;; [unrolled: 11-line block ×3, first 2 shown]
	v_mul_f16_sdwa v18, v6, v30 dst_sel:DWORD dst_unused:UNUSED_PAD src0_sel:WORD_1 src1_sel:DWORD
	s_waitcnt lgkmcnt(0)
	v_lshrrev_b32_e32 v31, 16, v24
	v_fma_f16 v18, v6, v19, v18
	v_mul_f16_sdwa v19, v6, v19 dst_sel:DWORD dst_unused:UNUSED_PAD src0_sel:WORD_1 src1_sel:DWORD
	v_fma_f16 v6, v6, v30, -v19
	v_mul_f16_sdwa v19, v7, v31 dst_sel:DWORD dst_unused:UNUSED_PAD src0_sel:WORD_1 src1_sel:DWORD
	v_mul_f16_sdwa v21, v7, v24 dst_sel:DWORD dst_unused:UNUSED_PAD src0_sel:WORD_1 src1_sel:DWORD
	v_fma_f16 v19, v7, v24, v19
	v_fma_f16 v7, v7, v31, -v21
	v_lshrrev_b32_e32 v20, 16, v14
	v_add_f16_e32 v21, v32, v19
	v_add_f16_e32 v22, v0, v7
	v_sub_f16_e32 v19, v32, v19
	v_sub_f16_e32 v0, v0, v7
	s_movk_i32 s5, 0x3a21
	v_add_f16_e32 v23, v15, v18
	v_add_f16_e32 v26, v1, v6
	;; [unrolled: 1-line block ×4, first 2 shown]
	v_sub_f16_e32 v7, v15, v18
	v_sub_f16_e32 v1, v1, v6
	;; [unrolled: 1-line block ×4, first 2 shown]
	v_mul_f16_e32 v5, 0x3924, v19
	v_mul_f16_e32 v12, 0x3924, v0
	s_movk_i32 s2, 0x3be1
	v_fma_f16 v18, v21, s5, v14
	v_fma_f16 v24, v22, s5, v20
	s_movk_i32 s6, 0x318f
	v_fma_f16 v5, v7, s2, v5
	v_fma_f16 v12, v1, s2, v12
	;; [unrolled: 3-line block ×3, first 2 shown]
	v_fma_f16 v5, v6, s3, v5
	v_fma_f16 v12, v2, s3, v12
	v_sub_f16_e32 v15, v13, v16
	v_sub_f16_e32 v17, v3, v4
	s_movk_i32 s4, 0x3579
	v_fma_f16 v18, v27, -0.5, v18
	v_fma_f16 v24, v29, -0.5, v24
	v_add_f16_e32 v30, v13, v16
	v_add_f16_e32 v31, v3, v4
	s_mov_b32 s7, 0xbb84
	v_fma_f16 v5, v15, s4, v5
	v_fma_f16 v12, v17, s4, v12
	;; [unrolled: 1-line block ×4, first 2 shown]
	v_sub_f16_e32 v18, v18, v12
	v_add_f16_e32 v32, v5, v24
	v_fma_f16 v24, v12, 2.0, v18
	v_fma_f16 v12, v5, -2.0, v32
	v_mul_f16_e32 v5, 0xb924, v15
	v_mul_f16_e32 v33, 0xb924, v17
	v_fma_f16 v5, v19, s2, v5
	v_fma_f16 v33, v0, s2, v33
	s_mov_b32 s2, 0xbaee
	s_mov_b32 s16, 0xb924
	v_fma_f16 v5, v6, s2, v5
	v_add_f16_e32 v44, v15, v19
	v_mul_f16_e32 v15, 0x3be1, v15
	v_fma_f16 v33, v2, s2, v33
	v_fma_f16 v5, v7, s4, v5
	v_add_f16_e32 v45, v17, v0
	v_sub_f16_e32 v44, v44, v7
	v_mul_f16_e32 v17, 0x3be1, v17
	v_fma_f16 v7, v7, s16, -v15
	v_fma_f16 v33, v1, s4, v33
	v_sub_f16_e32 v45, v45, v1
	v_add_f16_e32 v52, v26, v22
	v_fma_f16 v1, v1, s16, -v17
	v_fma_f16 v6, v6, s3, v7
	v_fma_f16 v1, v2, s3, v1
	v_fma_f16 v2, v19, s4, v6
	v_add_f16_e32 v6, v29, v52
	v_add_f16_e32 v51, v23, v21
	;; [unrolled: 1-line block ×3, first 2 shown]
	v_fma_f16 v42, v30, s5, v14
	v_fma_f16 v43, v31, s5, v20
	;; [unrolled: 1-line block ×3, first 2 shown]
	v_add_f16_e32 v1, v27, v51
	v_add_f16_e32 v3, v4, v3
	v_fma_f16 v4, v23, s5, v14
	v_fma_f16 v6, v26, s5, v20
	;; [unrolled: 1-line block ×4, first 2 shown]
	v_add_f16_e32 v1, v13, v1
	v_fma_f16 v4, v30, s6, v4
	v_fma_f16 v6, v31, s6, v6
	v_fma_f16 v42, v27, -0.5, v42
	v_fma_f16 v43, v29, -0.5, v43
	v_add_f16_e32 v48, v27, v14
	v_add_f16_e32 v50, v29, v20
	;; [unrolled: 1-line block ×5, first 2 shown]
	v_fma_f16 v4, v27, -0.5, v4
	v_fma_f16 v6, v29, -0.5, v6
	v_fma_f16 v42, v23, s7, v42
	v_fma_f16 v43, v26, s7, v43
	v_fma_f16 v48, v53, -0.5, v48
	v_fma_f16 v50, v54, -0.5, v50
	v_add_f16_e32 v1, v1, v14
	v_add_f16_e32 v3, v3, v20
	v_fma_f16 v4, v21, s7, v4
	v_fma_f16 v6, v22, s7, v6
	v_sub_f16_e32 v42, v42, v33
	v_add_f16_e32 v43, v5, v43
	v_mul_f16_e32 v46, 0x3aee, v44
	v_mul_f16_e32 v47, 0x3aee, v45
	v_fma_f16 v45, v45, s2, v48
	v_fma_f16 v44, v44, s3, v50
	v_sub_f16_e32 v4, v4, v0
	v_add_f16_e32 v6, v2, v6
	v_pack_b32_f16 v1, v1, v3
	v_pack_b32_f16 v3, v18, v32
	v_fma_f16 v0, v0, 2.0, v4
	v_fma_f16 v2, v2, -2.0, v6
	s_waitcnt lgkmcnt(0)
	; wave barrier
	ds_write2_b32 v36, v1, v3 offset1:13
	v_pack_b32_f16 v1, v42, v43
	v_pack_b32_f16 v3, v45, v44
	v_fma_f16 v33, v33, 2.0, v42
	v_fma_f16 v5, v5, -2.0, v43
	v_fma_f16 v47, v47, 2.0, v45
	v_fma_f16 v46, v46, -2.0, v44
	ds_write2_b32 v36, v1, v3 offset0:26 offset1:39
	v_pack_b32_f16 v1, v4, v6
	v_pack_b32_f16 v0, v0, v2
	ds_write2_b32 v36, v1, v0 offset0:52 offset1:65
	v_pack_b32_f16 v0, v47, v46
	v_pack_b32_f16 v1, v33, v5
	ds_write2_b32 v36, v0, v1 offset0:78 offset1:91
	v_pack_b32_f16 v0, v24, v12
	ds_write_b32 v36, v0 offset:416
	s_waitcnt lgkmcnt(0)
	; wave barrier
	s_waitcnt lgkmcnt(0)
	ds_read2_b32 v[2:3], v34 offset1:26
	ds_read2_b32 v[6:7], v34 offset0:117 offset1:143
	ds_read2_b32 v[0:1], v34 offset0:52 offset1:78
	;; [unrolled: 1-line block ×3, first 2 shown]
	v_add_u32_e32 v14, 0xd0, v41
	v_add_u32_e32 v13, 0x138, v41
	s_and_saveexec_b64 s[2:3], s[0:1]
	s_cbranch_execz .LBB0_19
; %bb.18:
	ds_read2_b32 v[24:25], v34 offset0:104 offset1:221
	s_waitcnt lgkmcnt(0)
	v_lshrrev_b32_e32 v12, 16, v24
	v_lshrrev_b32_e32 v49, 16, v25
.LBB0_19:
	s_or_b64 exec, exec, s[2:3]
	s_waitcnt lgkmcnt(2)
	v_lshrrev_b32_e32 v16, 16, v6
	v_mul_f16_sdwa v23, v37, v16 dst_sel:DWORD dst_unused:UNUSED_PAD src0_sel:WORD_1 src1_sel:DWORD
	v_lshrrev_b32_e32 v18, 16, v7
	v_fma_f16 v23, v37, v6, v23
	v_mul_f16_sdwa v6, v37, v6 dst_sel:DWORD dst_unused:UNUSED_PAD src0_sel:WORD_1 src1_sel:DWORD
	v_fma_f16 v6, v37, v16, -v6
	v_mul_f16_sdwa v16, v38, v18 dst_sel:DWORD dst_unused:UNUSED_PAD src0_sel:WORD_1 src1_sel:DWORD
	s_waitcnt lgkmcnt(0)
	v_lshrrev_b32_e32 v20, 16, v4
	v_fma_f16 v16, v38, v7, v16
	v_mul_f16_sdwa v7, v38, v7 dst_sel:DWORD dst_unused:UNUSED_PAD src0_sel:WORD_1 src1_sel:DWORD
	v_fma_f16 v7, v38, v18, -v7
	v_mul_f16_sdwa v18, v39, v20 dst_sel:DWORD dst_unused:UNUSED_PAD src0_sel:WORD_1 src1_sel:DWORD
	v_lshrrev_b32_e32 v22, 16, v5
	v_fma_f16 v18, v39, v4, v18
	v_mul_f16_sdwa v4, v39, v4 dst_sel:DWORD dst_unused:UNUSED_PAD src0_sel:WORD_1 src1_sel:DWORD
	v_fma_f16 v4, v39, v20, -v4
	v_mul_f16_sdwa v20, v40, v22 dst_sel:DWORD dst_unused:UNUSED_PAD src0_sel:WORD_1 src1_sel:DWORD
	v_lshrrev_b32_e32 v15, 16, v2
	v_lshrrev_b32_e32 v17, 16, v3
	;; [unrolled: 1-line block ×3, first 2 shown]
	v_fma_f16 v20, v40, v5, v20
	v_mul_f16_sdwa v5, v40, v5 dst_sel:DWORD dst_unused:UNUSED_PAD src0_sel:WORD_1 src1_sel:DWORD
	v_fma_f16 v5, v40, v22, -v5
	v_sub_f16_e32 v22, v2, v23
	v_sub_f16_e32 v6, v15, v6
	v_sub_f16_e32 v16, v3, v16
	v_sub_f16_e32 v7, v17, v7
	v_sub_f16_e32 v18, v0, v18
	v_sub_f16_e32 v4, v19, v4
	v_lshrrev_b32_e32 v21, 16, v1
	v_fma_f16 v2, v2, 2.0, -v22
	v_fma_f16 v15, v15, 2.0, -v6
	;; [unrolled: 1-line block ×6, first 2 shown]
	v_sub_f16_e32 v20, v1, v20
	v_sub_f16_e32 v5, v21, v5
	v_pack_b32_f16 v2, v2, v15
	v_pack_b32_f16 v3, v3, v17
	;; [unrolled: 1-line block ×3, first 2 shown]
	v_fma_f16 v1, v1, 2.0, -v20
	v_fma_f16 v21, v21, 2.0, -v5
	v_pack_b32_f16 v6, v22, v6
	ds_write2_b32 v35, v2, v3 offset1:26
	v_pack_b32_f16 v2, v16, v7
	ds_write_b32 v35, v0 offset:208
	v_pack_b32_f16 v0, v18, v4
	ds_write2_b32 v35, v6, v2 offset0:117 offset1:143
	ds_write_b32 v14, v0 offset:468
	v_pack_b32_f16 v0, v1, v21
	ds_write_b32 v35, v0 offset:312
	v_pack_b32_f16 v0, v20, v5
	ds_write_b32 v13, v0 offset:468
	s_and_saveexec_b64 s[2:3], s[0:1]
	s_cbranch_execz .LBB0_21
; %bb.20:
	v_mul_f16_sdwa v0, v9, v49 dst_sel:DWORD dst_unused:UNUSED_PAD src0_sel:WORD_1 src1_sel:DWORD
	v_mul_f16_sdwa v2, v9, v25 dst_sel:DWORD dst_unused:UNUSED_PAD src0_sel:WORD_1 src1_sel:DWORD
	v_fma_f16 v0, v9, v25, v0
	v_fma_f16 v2, v9, v49, -v2
	v_sub_f16_e32 v0, v24, v0
	v_sub_f16_e32 v2, v12, v2
	v_fma_f16 v1, v24, 2.0, -v0
	v_fma_f16 v3, v12, 2.0, -v2
	v_pack_b32_f16 v1, v1, v3
	v_pack_b32_f16 v0, v0, v2
	ds_write2_b32 v35, v1, v0 offset0:104 offset1:221
.LBB0_21:
	s_or_b64 exec, exec, s[2:3]
	s_waitcnt lgkmcnt(0)
	; wave barrier
	s_waitcnt lgkmcnt(0)
	s_and_b64 exec, exec, vcc
	s_cbranch_execz .LBB0_23
; %bb.22:
	global_load_dword v6, v11, s[12:13]
	ds_read_b32 v16, v35
	global_load_dword v5, v11, s[12:13] offset:72
	global_load_dword v9, v11, s[12:13] offset:144
	;; [unrolled: 1-line block ×7, first 2 shown]
	v_mad_u64_u32 v[2:3], s[0:1], s10, v10, 0
	v_mov_b32_e32 v18, v3
	s_waitcnt lgkmcnt(0)
	v_lshrrev_b32_e32 v3, 16, v16
	s_mov_b32 s6, 0x11811812
	s_mov_b32 s7, 0x3f718118
	s_movk_i32 s10, 0x1ff
	s_mov_b32 s16, 0x8000
	v_mov_b32_e32 v0, s14
	s_movk_i32 s14, 0xffe
	v_mov_b32_e32 v4, 0x7c00
	v_mov_b32_e32 v1, s15
	s_movk_i32 s15, 0x40f
	s_waitcnt vmcnt(7)
	v_mul_f16_sdwa v19, v16, v6 dst_sel:DWORD dst_unused:UNUSED_PAD src0_sel:DWORD src1_sel:WORD_1
	v_mul_f16_sdwa v17, v3, v6 dst_sel:DWORD dst_unused:UNUSED_PAD src0_sel:DWORD src1_sel:WORD_1
	v_fma_f16 v3, v6, v3, -v19
	v_fma_f16 v16, v16, v6, v17
	v_cvt_f32_f16_e32 v19, v3
	v_cvt_f32_f16_e32 v6, v16
	v_mad_u64_u32 v[16:17], s[0:1], s11, v10, v[18:19]
	v_mov_b32_e32 v3, v16
	v_cvt_f64_f32_e32 v[16:17], v6
	v_cvt_f64_f32_e32 v[18:19], v19
	v_mul_f64 v[16:17], v[16:17], s[6:7]
	v_mul_f64 v[18:19], v[18:19], s[6:7]
	v_and_or_b32 v6, v17, s10, v16
	v_lshrrev_b32_e32 v10, 8, v17
	v_bfe_u32 v16, v17, 20, 11
	v_and_b32_sdwa v22, v17, s16 dst_sel:DWORD dst_unused:UNUSED_PAD src0_sel:WORD_1 src1_sel:DWORD
	v_and_or_b32 v17, v19, s10, v18
	v_cmp_ne_u32_e32 vcc, 0, v6
	v_lshrrev_b32_e32 v18, 8, v19
	v_bfe_u32 v20, v19, 20, 11
	v_cndmask_b32_e64 v6, 0, 1, vcc
	v_cmp_ne_u32_e32 vcc, 0, v17
	v_sub_u32_e32 v21, 0x3f1, v16
	v_and_or_b32 v6, v10, s14, v6
	v_cndmask_b32_e64 v17, 0, 1, vcc
	v_sub_u32_e32 v23, 0x3f1, v20
	v_med3_i32 v10, v21, 0, 13
	v_and_or_b32 v17, v18, s14, v17
	v_or_b32_e32 v21, 0x1000, v6
	v_add_u32_e32 v16, 0xfffffc10, v16
	v_med3_i32 v18, v23, 0, 13
	v_cmp_ne_u32_e32 vcc, 0, v6
	v_or_b32_e32 v24, 0x1000, v17
	v_lshrrev_b32_e32 v26, v10, v21
	v_add_u32_e32 v20, 0xfffffc10, v20
	v_lshl_or_b32 v23, v16, 12, v6
	v_cndmask_b32_e64 v6, 0, 1, vcc
	v_cmp_ne_u32_e32 vcc, 0, v17
	v_lshrrev_b32_e32 v27, v18, v24
	v_lshlrev_b32_e32 v10, v10, v26
	v_lshl_or_b32 v25, v20, 12, v17
	v_cndmask_b32_e64 v17, 0, 1, vcc
	v_lshlrev_b32_e32 v18, v18, v27
	v_cmp_ne_u32_e32 vcc, v10, v21
	v_lshl_or_b32 v6, v6, 9, v4
	v_lshl_or_b32 v17, v17, 9, v4
	v_cndmask_b32_e64 v10, 0, 1, vcc
	v_cmp_ne_u32_e32 vcc, v18, v24
	v_or_b32_e32 v10, v26, v10
	v_lshrrev_b32_e32 v19, 16, v19
	v_cndmask_b32_e64 v18, 0, 1, vcc
	v_cmp_gt_i32_e32 vcc, 1, v16
	v_or_b32_e32 v18, v27, v18
	v_lshl_add_u64 v[0:1], v[2:3], 2, v[0:1]
	v_cndmask_b32_e32 v10, v23, v10, vcc
	v_cmp_gt_i32_e32 vcc, 1, v20
	v_and_b32_e32 v21, 7, v10
	v_cmp_eq_u32_e64 s[0:1], 3, v21
	v_cndmask_b32_e32 v18, v25, v18, vcc
	v_cmp_lt_i32_e32 vcc, 5, v21
	v_lshrrev_b32_e32 v10, 2, v10
	v_and_b32_e32 v23, 7, v18
	s_or_b64 vcc, s[0:1], vcc
	v_cmp_lt_i32_e64 s[2:3], 5, v23
	v_cmp_eq_u32_e64 s[4:5], 3, v23
	v_addc_co_u32_e32 v10, vcc, 0, v10, vcc
	v_lshrrev_b32_e32 v18, 2, v18
	s_or_b64 vcc, s[4:5], s[2:3]
	v_addc_co_u32_e32 v18, vcc, 0, v18, vcc
	v_cmp_gt_i32_e32 vcc, 31, v16
	s_mov_b32 s2, 0xffff
	s_mul_i32 s3, s9, 0x48
	v_cndmask_b32_e32 v10, v4, v10, vcc
	v_cmp_gt_i32_e32 vcc, 31, v20
	s_nop 1
	v_cndmask_b32_e32 v18, v4, v18, vcc
	v_cmp_eq_u32_e32 vcc, s15, v16
	s_nop 1
	v_cndmask_b32_e32 v10, v10, v6, vcc
	v_cmp_eq_u32_e32 vcc, s15, v20
	s_nop 1
	v_cndmask_b32_e32 v6, v18, v17, vcc
	v_mad_u64_u32 v[16:17], s[0:1], s8, v8, 0
	v_and_or_b32 v23, v19, s16, v6
	v_mov_b32_e32 v6, v17
	s_waitcnt vmcnt(0)
	v_mad_u64_u32 v[18:19], s[0:1], s9, v8, v[6:7]
	v_lshl_add_u32 v6, v28, 2, v11
	ds_read2_b32 v[20:21], v6 offset0:18 offset1:36
	v_bitop3_b32 v8, v22, s2, v10 bitop3:0xc8
	v_mov_b32_e32 v17, v18
	v_lshl_or_b32 v8, v23, 16, v8
	v_lshl_add_u64 v[0:1], v[16:17], 2, v[0:1]
	s_waitcnt lgkmcnt(0)
	v_lshrrev_b32_e32 v10, 16, v20
	v_mul_f16_sdwa v18, v10, v5 dst_sel:DWORD dst_unused:UNUSED_PAD src0_sel:DWORD src1_sel:WORD_1
	v_fma_f16 v18, v20, v5, v18
	v_cvt_f32_f16_e32 v18, v18
	global_store_dword v[0:1], v8, off
	v_cvt_f64_f32_e32 v[2:3], v18
	v_mul_f64 v[2:3], v[2:3], s[6:7]
	v_and_or_b32 v2, v3, s10, v2
	v_cmp_ne_u32_e32 vcc, 0, v2
	v_lshrrev_b32_e32 v8, 8, v3
	v_bfe_u32 v16, v3, 20, 11
	v_cndmask_b32_e64 v2, 0, 1, vcc
	v_and_or_b32 v2, v8, s14, v2
	v_sub_u32_e32 v17, 0x3f1, v16
	v_or_b32_e32 v8, 0x1000, v2
	v_med3_i32 v17, v17, 0, 13
	v_lshrrev_b32_e32 v18, v17, v8
	v_lshlrev_b32_e32 v17, v17, v18
	v_cmp_ne_u32_e32 vcc, v17, v8
	v_add_u32_e32 v16, 0xfffffc10, v16
	v_lshl_or_b32 v17, v16, 12, v2
	v_cndmask_b32_e64 v8, 0, 1, vcc
	v_or_b32_e32 v8, v18, v8
	v_cmp_gt_i32_e32 vcc, 1, v16
	s_nop 1
	v_cndmask_b32_e32 v8, v17, v8, vcc
	v_and_b32_e32 v17, 7, v8
	v_cmp_lt_i32_e32 vcc, 5, v17
	v_cmp_eq_u32_e64 s[0:1], 3, v17
	v_lshrrev_b32_e32 v8, 2, v8
	s_or_b64 vcc, s[0:1], vcc
	v_mul_f16_sdwa v17, v20, v5 dst_sel:DWORD dst_unused:UNUSED_PAD src0_sel:DWORD src1_sel:WORD_1
	v_addc_co_u32_e32 v8, vcc, 0, v8, vcc
	v_fma_f16 v5, v5, v10, -v17
	v_cmp_gt_i32_e32 vcc, 31, v16
	v_cvt_f32_f16_e32 v5, v5
	v_and_b32_sdwa v10, v3, s16 dst_sel:DWORD dst_unused:UNUSED_PAD src0_sel:WORD_1 src1_sel:DWORD
	v_cndmask_b32_e32 v8, v4, v8, vcc
	v_cmp_ne_u32_e32 vcc, 0, v2
	s_nop 1
	v_cndmask_b32_e64 v2, 0, 1, vcc
	v_lshl_or_b32 v2, v2, 9, v4
	v_cmp_eq_u32_e32 vcc, s15, v16
	s_nop 1
	v_cndmask_b32_e32 v8, v8, v2, vcc
	v_cvt_f64_f32_e32 v[2:3], v5
	v_mul_f64 v[2:3], v[2:3], s[6:7]
	v_and_or_b32 v2, v3, s10, v2
	v_cmp_ne_u32_e32 vcc, 0, v2
	v_lshrrev_b32_e32 v5, 8, v3
	v_bfe_u32 v16, v3, 20, 11
	v_cndmask_b32_e64 v2, 0, 1, vcc
	v_and_or_b32 v2, v5, s14, v2
	v_sub_u32_e32 v17, 0x3f1, v16
	v_or_b32_e32 v5, 0x1000, v2
	v_med3_i32 v17, v17, 0, 13
	v_lshrrev_b32_e32 v18, v17, v5
	v_lshlrev_b32_e32 v17, v17, v18
	v_cmp_ne_u32_e32 vcc, v17, v5
	v_add_u32_e32 v16, 0xfffffc10, v16
	v_lshl_or_b32 v17, v16, 12, v2
	v_cndmask_b32_e64 v5, 0, 1, vcc
	v_or_b32_e32 v5, v18, v5
	v_cmp_gt_i32_e32 vcc, 1, v16
	v_lshrrev_b32_e32 v3, 16, v3
	s_nop 0
	v_cndmask_b32_e32 v5, v17, v5, vcc
	v_and_b32_e32 v17, 7, v5
	v_cmp_lt_i32_e32 vcc, 5, v17
	v_cmp_eq_u32_e64 s[0:1], 3, v17
	v_lshrrev_b32_e32 v5, 2, v5
	s_or_b64 vcc, s[0:1], vcc
	v_addc_co_u32_e32 v5, vcc, 0, v5, vcc
	v_cmp_gt_i32_e32 vcc, 31, v16
	s_nop 1
	v_cndmask_b32_e32 v5, v4, v5, vcc
	v_cmp_ne_u32_e32 vcc, 0, v2
	s_nop 1
	v_cndmask_b32_e64 v2, 0, 1, vcc
	v_lshl_or_b32 v2, v2, 9, v4
	v_cmp_eq_u32_e32 vcc, s15, v16
	s_nop 1
	v_cndmask_b32_e32 v2, v5, v2, vcc
	v_and_or_b32 v2, v3, s16, v2
	v_bitop3_b32 v3, v10, s2, v8 bitop3:0xc8
	v_lshrrev_b32_e32 v8, 16, v21
	v_lshl_or_b32 v2, v2, 16, v3
	v_mul_f16_sdwa v3, v8, v9 dst_sel:DWORD dst_unused:UNUSED_PAD src0_sel:DWORD src1_sel:WORD_1
	v_fma_f16 v3, v21, v9, v3
	v_cvt_f32_f16_e32 v3, v3
	v_mov_b32_e32 v5, 0x48
	v_mad_u64_u32 v[0:1], s[0:1], s8, v5, v[0:1]
	v_add_u32_e32 v1, s3, v1
	global_store_dword v[0:1], v2, off
	v_cvt_f64_f32_e32 v[2:3], v3
	v_mul_f64 v[2:3], v[2:3], s[6:7]
	v_and_or_b32 v2, v3, s10, v2
	v_cmp_ne_u32_e32 vcc, 0, v2
	v_lshrrev_b32_e32 v10, 8, v3
	v_bfe_u32 v16, v3, 20, 11
	v_cndmask_b32_e64 v2, 0, 1, vcc
	v_and_or_b32 v2, v10, s14, v2
	v_sub_u32_e32 v17, 0x3f1, v16
	v_or_b32_e32 v10, 0x1000, v2
	v_med3_i32 v17, v17, 0, 13
	v_lshrrev_b32_e32 v18, v17, v10
	v_lshlrev_b32_e32 v17, v17, v18
	v_cmp_ne_u32_e32 vcc, v17, v10
	v_add_u32_e32 v16, 0xfffffc10, v16
	v_lshl_or_b32 v17, v16, 12, v2
	v_cndmask_b32_e64 v10, 0, 1, vcc
	v_or_b32_e32 v10, v18, v10
	v_cmp_gt_i32_e32 vcc, 1, v16
	s_nop 1
	v_cndmask_b32_e32 v10, v17, v10, vcc
	v_and_b32_e32 v17, 7, v10
	v_cmp_lt_i32_e32 vcc, 5, v17
	v_cmp_eq_u32_e64 s[0:1], 3, v17
	v_lshrrev_b32_e32 v10, 2, v10
	s_or_b64 vcc, s[0:1], vcc
	v_mul_f16_sdwa v17, v21, v9 dst_sel:DWORD dst_unused:UNUSED_PAD src0_sel:DWORD src1_sel:WORD_1
	v_addc_co_u32_e32 v10, vcc, 0, v10, vcc
	v_fma_f16 v8, v9, v8, -v17
	v_cmp_gt_i32_e32 vcc, 31, v16
	v_cvt_f32_f16_e32 v8, v8
	s_nop 0
	v_cndmask_b32_e32 v10, v4, v10, vcc
	v_cmp_ne_u32_e32 vcc, 0, v2
	s_nop 1
	v_cndmask_b32_e64 v2, 0, 1, vcc
	v_lshl_or_b32 v2, v2, 9, v4
	v_cmp_eq_u32_e32 vcc, s15, v16
	v_and_b32_sdwa v16, v3, s16 dst_sel:DWORD dst_unused:UNUSED_PAD src0_sel:WORD_1 src1_sel:DWORD
	s_nop 0
	v_cndmask_b32_e32 v10, v10, v2, vcc
	v_cvt_f64_f32_e32 v[2:3], v8
	v_mul_f64 v[2:3], v[2:3], s[6:7]
	v_and_or_b32 v2, v3, s10, v2
	v_cmp_ne_u32_e32 vcc, 0, v2
	v_lshrrev_b32_e32 v8, 8, v3
	v_bfe_u32 v9, v3, 20, 11
	v_cndmask_b32_e64 v2, 0, 1, vcc
	v_and_or_b32 v2, v8, s14, v2
	v_sub_u32_e32 v17, 0x3f1, v9
	v_or_b32_e32 v8, 0x1000, v2
	v_med3_i32 v17, v17, 0, 13
	v_lshrrev_b32_e32 v18, v17, v8
	v_lshlrev_b32_e32 v17, v17, v18
	v_cmp_ne_u32_e32 vcc, v17, v8
	v_add_u32_e32 v9, 0xfffffc10, v9
	v_lshl_or_b32 v17, v9, 12, v2
	v_cndmask_b32_e64 v8, 0, 1, vcc
	v_or_b32_e32 v8, v18, v8
	v_cmp_gt_i32_e32 vcc, 1, v9
	v_lshrrev_b32_e32 v3, 16, v3
	s_nop 0
	v_cndmask_b32_e32 v8, v17, v8, vcc
	v_and_b32_e32 v17, 7, v8
	v_cmp_lt_i32_e32 vcc, 5, v17
	v_cmp_eq_u32_e64 s[0:1], 3, v17
	v_lshrrev_b32_e32 v8, 2, v8
	s_or_b64 vcc, s[0:1], vcc
	v_addc_co_u32_e32 v8, vcc, 0, v8, vcc
	v_cmp_gt_i32_e32 vcc, 31, v9
	v_mad_u64_u32 v[0:1], s[0:1], s8, v5, v[0:1]
	s_nop 0
	v_cndmask_b32_e32 v8, v4, v8, vcc
	v_cmp_ne_u32_e32 vcc, 0, v2
	v_add_u32_e32 v1, s3, v1
	s_nop 0
	v_cndmask_b32_e64 v2, 0, 1, vcc
	v_lshl_or_b32 v2, v2, 9, v4
	v_cmp_eq_u32_e32 vcc, s15, v9
	s_nop 1
	v_cndmask_b32_e32 v2, v8, v2, vcc
	ds_read2_b32 v[8:9], v6 offset0:54 offset1:72
	v_and_or_b32 v2, v3, s16, v2
	v_bitop3_b32 v3, v16, s2, v10 bitop3:0xc8
	v_lshl_or_b32 v2, v2, 16, v3
	global_store_dword v[0:1], v2, off
	s_waitcnt lgkmcnt(0)
	v_lshrrev_b32_e32 v10, 16, v8
	v_mul_f16_sdwa v3, v10, v12 dst_sel:DWORD dst_unused:UNUSED_PAD src0_sel:DWORD src1_sel:WORD_1
	v_fma_f16 v3, v8, v12, v3
	v_cvt_f32_f16_e32 v3, v3
	v_mul_f16_sdwa v8, v8, v12 dst_sel:DWORD dst_unused:UNUSED_PAD src0_sel:DWORD src1_sel:WORD_1
	v_fma_f16 v8, v12, v10, -v8
	v_cvt_f32_f16_e32 v8, v8
	v_cvt_f64_f32_e32 v[2:3], v3
	v_mul_f64 v[2:3], v[2:3], s[6:7]
	v_and_or_b32 v2, v3, s10, v2
	v_cmp_ne_u32_e32 vcc, 0, v2
	v_lshrrev_b32_e32 v16, 8, v3
	v_bfe_u32 v17, v3, 20, 11
	v_cndmask_b32_e64 v2, 0, 1, vcc
	v_and_or_b32 v2, v16, s14, v2
	v_sub_u32_e32 v18, 0x3f1, v17
	v_or_b32_e32 v16, 0x1000, v2
	v_med3_i32 v18, v18, 0, 13
	v_lshrrev_b32_e32 v19, v18, v16
	v_lshlrev_b32_e32 v18, v18, v19
	v_cmp_ne_u32_e32 vcc, v18, v16
	v_add_u32_e32 v17, 0xfffffc10, v17
	v_lshl_or_b32 v18, v17, 12, v2
	v_cndmask_b32_e64 v16, 0, 1, vcc
	v_or_b32_e32 v16, v19, v16
	v_cmp_gt_i32_e32 vcc, 1, v17
	v_and_b32_sdwa v12, v3, s16 dst_sel:DWORD dst_unused:UNUSED_PAD src0_sel:WORD_1 src1_sel:DWORD
	s_nop 0
	v_cndmask_b32_e32 v16, v18, v16, vcc
	v_and_b32_e32 v18, 7, v16
	v_cmp_lt_i32_e32 vcc, 5, v18
	v_cmp_eq_u32_e64 s[0:1], 3, v18
	v_lshrrev_b32_e32 v16, 2, v16
	s_or_b64 vcc, s[0:1], vcc
	v_addc_co_u32_e32 v16, vcc, 0, v16, vcc
	v_cmp_gt_i32_e32 vcc, 31, v17
	s_nop 1
	v_cndmask_b32_e32 v16, v4, v16, vcc
	v_cmp_ne_u32_e32 vcc, 0, v2
	s_nop 1
	v_cndmask_b32_e64 v2, 0, 1, vcc
	v_lshl_or_b32 v2, v2, 9, v4
	v_cmp_eq_u32_e32 vcc, s15, v17
	s_nop 1
	v_cndmask_b32_e32 v10, v16, v2, vcc
	v_cvt_f64_f32_e32 v[2:3], v8
	v_mul_f64 v[2:3], v[2:3], s[6:7]
	v_and_or_b32 v2, v3, s10, v2
	v_cmp_ne_u32_e32 vcc, 0, v2
	v_lshrrev_b32_e32 v8, 8, v3
	v_bfe_u32 v16, v3, 20, 11
	v_cndmask_b32_e64 v2, 0, 1, vcc
	v_and_or_b32 v2, v8, s14, v2
	v_sub_u32_e32 v17, 0x3f1, v16
	v_or_b32_e32 v8, 0x1000, v2
	v_med3_i32 v17, v17, 0, 13
	v_lshrrev_b32_e32 v18, v17, v8
	v_lshlrev_b32_e32 v17, v17, v18
	v_cmp_ne_u32_e32 vcc, v17, v8
	v_add_u32_e32 v16, 0xfffffc10, v16
	v_lshl_or_b32 v17, v16, 12, v2
	v_cndmask_b32_e64 v8, 0, 1, vcc
	v_or_b32_e32 v8, v18, v8
	v_cmp_gt_i32_e32 vcc, 1, v16
	v_lshrrev_b32_e32 v3, 16, v3
	s_nop 0
	v_cndmask_b32_e32 v8, v17, v8, vcc
	v_and_b32_e32 v17, 7, v8
	v_cmp_lt_i32_e32 vcc, 5, v17
	v_cmp_eq_u32_e64 s[0:1], 3, v17
	v_lshrrev_b32_e32 v8, 2, v8
	s_or_b64 vcc, s[0:1], vcc
	v_addc_co_u32_e32 v8, vcc, 0, v8, vcc
	v_cmp_gt_i32_e32 vcc, 31, v16
	v_mad_u64_u32 v[0:1], s[0:1], s8, v5, v[0:1]
	s_nop 0
	v_cndmask_b32_e32 v8, v4, v8, vcc
	v_cmp_ne_u32_e32 vcc, 0, v2
	v_add_u32_e32 v1, s3, v1
	s_nop 0
	v_cndmask_b32_e64 v2, 0, 1, vcc
	v_lshl_or_b32 v2, v2, 9, v4
	v_cmp_eq_u32_e32 vcc, s15, v16
	s_nop 1
	v_cndmask_b32_e32 v2, v8, v2, vcc
	v_and_or_b32 v2, v3, s16, v2
	v_bitop3_b32 v3, v12, s2, v10 bitop3:0xc8
	v_lshrrev_b32_e32 v8, 16, v9
	v_lshl_or_b32 v2, v2, 16, v3
	v_mul_f16_sdwa v3, v8, v13 dst_sel:DWORD dst_unused:UNUSED_PAD src0_sel:DWORD src1_sel:WORD_1
	v_fma_f16 v3, v9, v13, v3
	v_cvt_f32_f16_e32 v3, v3
	global_store_dword v[0:1], v2, off
	v_mul_f16_sdwa v9, v9, v13 dst_sel:DWORD dst_unused:UNUSED_PAD src0_sel:DWORD src1_sel:WORD_1
	v_fma_f16 v8, v13, v8, -v9
	v_cvt_f64_f32_e32 v[2:3], v3
	v_mul_f64 v[2:3], v[2:3], s[6:7]
	v_and_or_b32 v2, v3, s10, v2
	v_cmp_ne_u32_e32 vcc, 0, v2
	v_lshrrev_b32_e32 v10, 8, v3
	v_bfe_u32 v12, v3, 20, 11
	v_cndmask_b32_e64 v2, 0, 1, vcc
	v_and_or_b32 v2, v10, s14, v2
	v_sub_u32_e32 v16, 0x3f1, v12
	v_or_b32_e32 v10, 0x1000, v2
	v_med3_i32 v16, v16, 0, 13
	v_lshrrev_b32_e32 v17, v16, v10
	v_lshlrev_b32_e32 v16, v16, v17
	v_cmp_ne_u32_e32 vcc, v16, v10
	v_add_u32_e32 v12, 0xfffffc10, v12
	v_lshl_or_b32 v16, v12, 12, v2
	v_cndmask_b32_e64 v10, 0, 1, vcc
	v_or_b32_e32 v10, v17, v10
	v_cmp_gt_i32_e32 vcc, 1, v12
	v_cvt_f32_f16_e32 v8, v8
	s_nop 0
	v_cndmask_b32_e32 v10, v16, v10, vcc
	v_and_b32_e32 v16, 7, v10
	v_cmp_lt_i32_e32 vcc, 5, v16
	v_cmp_eq_u32_e64 s[0:1], 3, v16
	v_lshrrev_b32_e32 v10, 2, v10
	s_or_b64 vcc, s[0:1], vcc
	v_addc_co_u32_e32 v10, vcc, 0, v10, vcc
	v_cmp_gt_i32_e32 vcc, 31, v12
	s_nop 1
	v_cndmask_b32_e32 v10, v4, v10, vcc
	v_cmp_ne_u32_e32 vcc, 0, v2
	s_nop 1
	v_cndmask_b32_e64 v2, 0, 1, vcc
	v_lshl_or_b32 v2, v2, 9, v4
	v_cmp_eq_u32_e32 vcc, s15, v12
	v_and_b32_sdwa v12, v3, s16 dst_sel:DWORD dst_unused:UNUSED_PAD src0_sel:WORD_1 src1_sel:DWORD
	s_nop 0
	v_cndmask_b32_e32 v10, v10, v2, vcc
	v_cvt_f64_f32_e32 v[2:3], v8
	v_mul_f64 v[2:3], v[2:3], s[6:7]
	v_and_or_b32 v2, v3, s10, v2
	v_cmp_ne_u32_e32 vcc, 0, v2
	v_lshrrev_b32_e32 v8, 8, v3
	v_bfe_u32 v9, v3, 20, 11
	v_cndmask_b32_e64 v2, 0, 1, vcc
	v_and_or_b32 v2, v8, s14, v2
	v_sub_u32_e32 v13, 0x3f1, v9
	v_or_b32_e32 v8, 0x1000, v2
	v_med3_i32 v13, v13, 0, 13
	v_lshrrev_b32_e32 v16, v13, v8
	v_lshlrev_b32_e32 v13, v13, v16
	v_cmp_ne_u32_e32 vcc, v13, v8
	v_add_u32_e32 v9, 0xfffffc10, v9
	v_lshl_or_b32 v13, v9, 12, v2
	v_cndmask_b32_e64 v8, 0, 1, vcc
	v_or_b32_e32 v8, v16, v8
	v_cmp_gt_i32_e32 vcc, 1, v9
	v_lshrrev_b32_e32 v3, 16, v3
	s_nop 0
	v_cndmask_b32_e32 v8, v13, v8, vcc
	v_and_b32_e32 v13, 7, v8
	v_cmp_lt_i32_e32 vcc, 5, v13
	v_cmp_eq_u32_e64 s[0:1], 3, v13
	v_lshrrev_b32_e32 v8, 2, v8
	s_or_b64 vcc, s[0:1], vcc
	v_addc_co_u32_e32 v8, vcc, 0, v8, vcc
	v_cmp_gt_i32_e32 vcc, 31, v9
	v_mad_u64_u32 v[0:1], s[0:1], s8, v5, v[0:1]
	s_nop 0
	v_cndmask_b32_e32 v8, v4, v8, vcc
	v_cmp_ne_u32_e32 vcc, 0, v2
	v_add_u32_e32 v1, s3, v1
	s_nop 0
	v_cndmask_b32_e64 v2, 0, 1, vcc
	v_lshl_or_b32 v2, v2, 9, v4
	v_cmp_eq_u32_e32 vcc, s15, v9
	s_nop 1
	v_cndmask_b32_e32 v2, v8, v2, vcc
	ds_read2_b32 v[8:9], v6 offset0:90 offset1:108
	v_and_or_b32 v2, v3, s16, v2
	v_bitop3_b32 v3, v12, s2, v10 bitop3:0xc8
	v_lshl_or_b32 v2, v2, 16, v3
	global_store_dword v[0:1], v2, off
	s_waitcnt lgkmcnt(0)
	v_lshrrev_b32_e32 v10, 16, v8
	v_mul_f16_sdwa v3, v10, v14 dst_sel:DWORD dst_unused:UNUSED_PAD src0_sel:DWORD src1_sel:WORD_1
	v_fma_f16 v3, v8, v14, v3
	v_cvt_f32_f16_e32 v3, v3
	v_mul_f16_sdwa v8, v8, v14 dst_sel:DWORD dst_unused:UNUSED_PAD src0_sel:DWORD src1_sel:WORD_1
	v_fma_f16 v8, v14, v10, -v8
	v_cvt_f32_f16_e32 v8, v8
	v_cvt_f64_f32_e32 v[2:3], v3
	v_mul_f64 v[2:3], v[2:3], s[6:7]
	v_and_or_b32 v2, v3, s10, v2
	v_cmp_ne_u32_e32 vcc, 0, v2
	v_lshrrev_b32_e32 v12, 8, v3
	v_bfe_u32 v13, v3, 20, 11
	v_cndmask_b32_e64 v2, 0, 1, vcc
	v_and_or_b32 v2, v12, s14, v2
	v_sub_u32_e32 v16, 0x3f1, v13
	v_or_b32_e32 v12, 0x1000, v2
	v_med3_i32 v16, v16, 0, 13
	v_lshrrev_b32_e32 v17, v16, v12
	v_lshlrev_b32_e32 v16, v16, v17
	v_cmp_ne_u32_e32 vcc, v16, v12
	v_add_u32_e32 v13, 0xfffffc10, v13
	v_lshl_or_b32 v16, v13, 12, v2
	v_cndmask_b32_e64 v12, 0, 1, vcc
	v_or_b32_e32 v12, v17, v12
	v_cmp_gt_i32_e32 vcc, 1, v13
	s_nop 1
	v_cndmask_b32_e32 v12, v16, v12, vcc
	v_and_b32_e32 v16, 7, v12
	v_cmp_lt_i32_e32 vcc, 5, v16
	v_cmp_eq_u32_e64 s[0:1], 3, v16
	v_lshrrev_b32_e32 v12, 2, v12
	s_or_b64 vcc, s[0:1], vcc
	v_addc_co_u32_e32 v12, vcc, 0, v12, vcc
	v_cmp_gt_i32_e32 vcc, 31, v13
	s_nop 1
	v_cndmask_b32_e32 v12, v4, v12, vcc
	v_cmp_ne_u32_e32 vcc, 0, v2
	s_nop 1
	v_cndmask_b32_e64 v2, 0, 1, vcc
	v_lshl_or_b32 v2, v2, 9, v4
	v_cmp_eq_u32_e32 vcc, s15, v13
	s_nop 1
	v_cndmask_b32_e32 v10, v12, v2, vcc
	v_and_b32_sdwa v12, v3, s16 dst_sel:DWORD dst_unused:UNUSED_PAD src0_sel:WORD_1 src1_sel:DWORD
	v_cvt_f64_f32_e32 v[2:3], v8
	v_mul_f64 v[2:3], v[2:3], s[6:7]
	v_and_or_b32 v2, v3, s10, v2
	v_cmp_ne_u32_e32 vcc, 0, v2
	v_lshrrev_b32_e32 v8, 8, v3
	v_bfe_u32 v13, v3, 20, 11
	v_cndmask_b32_e64 v2, 0, 1, vcc
	v_and_or_b32 v2, v8, s14, v2
	v_sub_u32_e32 v14, 0x3f1, v13
	v_or_b32_e32 v8, 0x1000, v2
	v_med3_i32 v14, v14, 0, 13
	v_lshrrev_b32_e32 v16, v14, v8
	v_lshlrev_b32_e32 v14, v14, v16
	v_cmp_ne_u32_e32 vcc, v14, v8
	v_add_u32_e32 v13, 0xfffffc10, v13
	v_lshl_or_b32 v14, v13, 12, v2
	v_cndmask_b32_e64 v8, 0, 1, vcc
	v_or_b32_e32 v8, v16, v8
	v_cmp_gt_i32_e32 vcc, 1, v13
	v_lshrrev_b32_e32 v3, 16, v3
	s_nop 0
	v_cndmask_b32_e32 v8, v14, v8, vcc
	v_and_b32_e32 v14, 7, v8
	v_cmp_lt_i32_e32 vcc, 5, v14
	v_cmp_eq_u32_e64 s[0:1], 3, v14
	v_lshrrev_b32_e32 v8, 2, v8
	s_or_b64 vcc, s[0:1], vcc
	v_addc_co_u32_e32 v8, vcc, 0, v8, vcc
	v_cmp_gt_i32_e32 vcc, 31, v13
	s_nop 1
	v_cndmask_b32_e32 v8, v4, v8, vcc
	v_cmp_ne_u32_e32 vcc, 0, v2
	s_nop 1
	v_cndmask_b32_e64 v2, 0, 1, vcc
	v_lshl_or_b32 v2, v2, 9, v4
	v_cmp_eq_u32_e32 vcc, s15, v13
	s_nop 1
	v_cndmask_b32_e32 v2, v8, v2, vcc
	v_and_or_b32 v2, v3, s16, v2
	v_bitop3_b32 v3, v12, s2, v10 bitop3:0xc8
	v_lshrrev_b32_e32 v10, 16, v9
	v_lshl_or_b32 v8, v2, 16, v3
	v_mul_f16_sdwa v2, v10, v15 dst_sel:DWORD dst_unused:UNUSED_PAD src0_sel:DWORD src1_sel:WORD_1
	v_fma_f16 v2, v9, v15, v2
	v_cvt_f32_f16_e32 v12, v2
	v_mad_u64_u32 v[2:3], s[0:1], s8, v5, v[0:1]
	v_add_u32_e32 v3, s3, v3
	v_cvt_f64_f32_e32 v[0:1], v12
	v_mul_f64 v[0:1], v[0:1], s[6:7]
	v_and_or_b32 v0, v1, s10, v0
	v_cmp_ne_u32_e32 vcc, 0, v0
	global_store_dword v[2:3], v8, off
	v_lshrrev_b32_e32 v8, 8, v1
	v_cndmask_b32_e64 v0, 0, 1, vcc
	v_bfe_u32 v12, v1, 20, 11
	v_and_or_b32 v0, v8, s14, v0
	v_sub_u32_e32 v13, 0x3f1, v12
	v_or_b32_e32 v8, 0x1000, v0
	v_med3_i32 v13, v13, 0, 13
	v_lshrrev_b32_e32 v14, v13, v8
	v_lshlrev_b32_e32 v13, v13, v14
	v_cmp_ne_u32_e32 vcc, v13, v8
	v_add_u32_e32 v12, 0xfffffc10, v12
	v_lshl_or_b32 v13, v12, 12, v0
	v_cndmask_b32_e64 v8, 0, 1, vcc
	v_or_b32_e32 v8, v14, v8
	v_cmp_gt_i32_e32 vcc, 1, v12
	v_mul_f16_sdwa v9, v9, v15 dst_sel:DWORD dst_unused:UNUSED_PAD src0_sel:DWORD src1_sel:WORD_1
	v_fma_f16 v9, v15, v10, -v9
	v_cndmask_b32_e32 v8, v13, v8, vcc
	v_and_b32_e32 v13, 7, v8
	v_cmp_lt_i32_e32 vcc, 5, v13
	v_cmp_eq_u32_e64 s[0:1], 3, v13
	v_lshrrev_b32_e32 v8, 2, v8
	s_or_b64 vcc, s[0:1], vcc
	v_addc_co_u32_e32 v8, vcc, 0, v8, vcc
	v_cmp_gt_i32_e32 vcc, 31, v12
	v_cvt_f32_f16_e32 v9, v9
	s_nop 0
	v_cndmask_b32_e32 v8, v4, v8, vcc
	v_cmp_ne_u32_e32 vcc, 0, v0
	s_nop 1
	v_cndmask_b32_e64 v0, 0, 1, vcc
	v_lshl_or_b32 v0, v0, 9, v4
	v_cmp_eq_u32_e32 vcc, s15, v12
	v_and_b32_sdwa v12, v1, s16 dst_sel:DWORD dst_unused:UNUSED_PAD src0_sel:WORD_1 src1_sel:DWORD
	s_nop 0
	v_cndmask_b32_e32 v10, v8, v0, vcc
	v_cvt_f64_f32_e32 v[0:1], v9
	v_mul_f64 v[8:9], v[0:1], s[6:7]
	v_and_or_b32 v0, v9, s10, v8
	v_cmp_ne_u32_e32 vcc, 0, v0
	v_lshrrev_b32_e32 v1, 8, v9
	v_bfe_u32 v8, v9, 20, 11
	v_cndmask_b32_e64 v0, 0, 1, vcc
	v_and_or_b32 v0, v1, s14, v0
	v_sub_u32_e32 v13, 0x3f1, v8
	v_or_b32_e32 v1, 0x1000, v0
	v_med3_i32 v13, v13, 0, 13
	v_lshrrev_b32_e32 v14, v13, v1
	v_lshlrev_b32_e32 v13, v13, v14
	v_cmp_ne_u32_e32 vcc, v13, v1
	v_add_u32_e32 v8, 0xfffffc10, v8
	v_lshl_or_b32 v13, v8, 12, v0
	v_cndmask_b32_e64 v1, 0, 1, vcc
	v_or_b32_e32 v1, v14, v1
	v_cmp_gt_i32_e32 vcc, 1, v8
	v_lshrrev_b32_e32 v9, 16, v9
	s_nop 0
	v_cndmask_b32_e32 v1, v13, v1, vcc
	v_and_b32_e32 v13, 7, v1
	v_cmp_lt_i32_e32 vcc, 5, v13
	v_cmp_eq_u32_e64 s[0:1], 3, v13
	v_lshrrev_b32_e32 v1, 2, v1
	s_or_b64 vcc, s[0:1], vcc
	v_addc_co_u32_e32 v1, vcc, 0, v1, vcc
	v_cmp_gt_i32_e32 vcc, 31, v8
	v_mad_u64_u32 v[2:3], s[0:1], s8, v5, v[2:3]
	s_nop 0
	v_cndmask_b32_e32 v1, v4, v1, vcc
	v_cmp_ne_u32_e32 vcc, 0, v0
	v_add_u32_e32 v3, s3, v3
	s_nop 0
	v_cndmask_b32_e64 v0, 0, 1, vcc
	v_lshl_or_b32 v0, v0, 9, v4
	v_cmp_eq_u32_e32 vcc, s15, v8
	s_nop 1
	v_cndmask_b32_e32 v8, v1, v0, vcc
	v_and_or_b32 v8, v9, s16, v8
	v_bitop3_b32 v9, v12, s2, v10 bitop3:0xc8
	global_load_dword v12, v11, s[12:13] offset:576
	ds_read2_b32 v[0:1], v6 offset0:126 offset1:144
	v_lshl_or_b32 v8, v8, 16, v9
	global_store_dword v[2:3], v8, off
	s_waitcnt lgkmcnt(0)
	v_lshrrev_b32_e32 v10, 16, v0
	v_mul_f16_sdwa v9, v10, v7 dst_sel:DWORD dst_unused:UNUSED_PAD src0_sel:DWORD src1_sel:WORD_1
	v_fma_f16 v9, v0, v7, v9
	v_cvt_f32_f16_e32 v9, v9
	v_mul_f16_sdwa v0, v0, v7 dst_sel:DWORD dst_unused:UNUSED_PAD src0_sel:DWORD src1_sel:WORD_1
	v_fma_f16 v0, v7, v10, -v0
	v_cvt_f32_f16_e32 v0, v0
	v_cvt_f64_f32_e32 v[8:9], v9
	v_mul_f64 v[8:9], v[8:9], s[6:7]
	v_and_or_b32 v8, v9, s10, v8
	v_cmp_ne_u32_e32 vcc, 0, v8
	v_lshrrev_b32_e32 v13, 8, v9
	v_bfe_u32 v14, v9, 20, 11
	v_cndmask_b32_e64 v8, 0, 1, vcc
	v_and_or_b32 v8, v13, s14, v8
	v_sub_u32_e32 v15, 0x3f1, v14
	v_or_b32_e32 v13, 0x1000, v8
	v_med3_i32 v15, v15, 0, 13
	v_lshrrev_b32_e32 v16, v15, v13
	v_lshlrev_b32_e32 v15, v15, v16
	v_cmp_ne_u32_e32 vcc, v15, v13
	v_add_u32_e32 v14, 0xfffffc10, v14
	v_lshl_or_b32 v15, v14, 12, v8
	v_cndmask_b32_e64 v13, 0, 1, vcc
	v_or_b32_e32 v13, v16, v13
	v_cmp_gt_i32_e32 vcc, 1, v14
	v_and_b32_sdwa v10, v9, s16 dst_sel:DWORD dst_unused:UNUSED_PAD src0_sel:WORD_1 src1_sel:DWORD
	s_nop 0
	v_cndmask_b32_e32 v13, v15, v13, vcc
	v_and_b32_e32 v15, 7, v13
	v_cmp_lt_i32_e32 vcc, 5, v15
	v_cmp_eq_u32_e64 s[0:1], 3, v15
	v_lshrrev_b32_e32 v13, 2, v13
	s_or_b64 vcc, s[0:1], vcc
	v_addc_co_u32_e32 v13, vcc, 0, v13, vcc
	v_cmp_gt_i32_e32 vcc, 31, v14
	s_nop 1
	v_cndmask_b32_e32 v13, v4, v13, vcc
	v_cmp_ne_u32_e32 vcc, 0, v8
	s_nop 1
	v_cndmask_b32_e64 v8, 0, 1, vcc
	v_lshl_or_b32 v8, v8, 9, v4
	v_cmp_eq_u32_e32 vcc, s15, v14
	s_nop 1
	v_cndmask_b32_e32 v7, v13, v8, vcc
	v_cvt_f64_f32_e32 v[8:9], v0
	v_mul_f64 v[8:9], v[8:9], s[6:7]
	v_and_or_b32 v0, v9, s10, v8
	v_cmp_ne_u32_e32 vcc, 0, v0
	v_lshrrev_b32_e32 v8, 8, v9
	v_bfe_u32 v13, v9, 20, 11
	v_cndmask_b32_e64 v0, 0, 1, vcc
	v_and_or_b32 v0, v8, s14, v0
	v_sub_u32_e32 v14, 0x3f1, v13
	v_or_b32_e32 v8, 0x1000, v0
	v_med3_i32 v14, v14, 0, 13
	v_lshrrev_b32_e32 v15, v14, v8
	v_lshlrev_b32_e32 v14, v14, v15
	v_cmp_ne_u32_e32 vcc, v14, v8
	v_add_u32_e32 v13, 0xfffffc10, v13
	v_lshl_or_b32 v14, v13, 12, v0
	v_cndmask_b32_e64 v8, 0, 1, vcc
	v_or_b32_e32 v8, v15, v8
	v_cmp_gt_i32_e32 vcc, 1, v13
	v_bitop3_b32 v7, v10, s2, v7 bitop3:0xc8
	s_nop 0
	v_cndmask_b32_e32 v8, v14, v8, vcc
	v_and_b32_e32 v14, 7, v8
	v_cmp_lt_i32_e32 vcc, 5, v14
	v_cmp_eq_u32_e64 s[0:1], 3, v14
	v_lshrrev_b32_e32 v8, 2, v8
	s_or_b64 vcc, s[0:1], vcc
	v_addc_co_u32_e32 v8, vcc, 0, v8, vcc
	v_cmp_gt_i32_e32 vcc, 31, v13
	v_mad_u64_u32 v[2:3], s[0:1], s8, v5, v[2:3]
	s_nop 0
	v_cndmask_b32_e32 v8, v4, v8, vcc
	v_cmp_ne_u32_e32 vcc, 0, v0
	v_add_u32_e32 v3, s3, v3
	s_nop 0
	v_cndmask_b32_e64 v0, 0, 1, vcc
	v_cmp_eq_u32_e32 vcc, s15, v13
	global_load_dword v10, v11, s[12:13] offset:648
	global_load_dword v13, v11, s[12:13] offset:720
	;; [unrolled: 1-line block ×3, first 2 shown]
	v_lshl_or_b32 v0, v0, 9, v4
	v_cndmask_b32_e32 v0, v8, v0, vcc
	v_lshrrev_b32_e32 v8, 16, v9
	v_and_or_b32 v0, v8, s16, v0
	v_lshl_or_b32 v0, v0, 16, v7
	v_lshrrev_b32_e32 v7, 16, v1
	s_waitcnt vmcnt(4)
	v_mul_f16_sdwa v8, v7, v12 dst_sel:DWORD dst_unused:UNUSED_PAD src0_sel:DWORD src1_sel:WORD_1
	v_fma_f16 v8, v1, v12, v8
	v_cvt_f32_f16_e32 v8, v8
	global_store_dword v[2:3], v0, off
	v_mul_f16_sdwa v1, v1, v12 dst_sel:DWORD dst_unused:UNUSED_PAD src0_sel:DWORD src1_sel:WORD_1
	v_fma_f16 v1, v12, v7, -v1
	v_cvt_f64_f32_e32 v[8:9], v8
	v_mul_f64 v[8:9], v[8:9], s[6:7]
	v_and_or_b32 v0, v9, s10, v8
	v_cmp_ne_u32_e32 vcc, 0, v0
	v_lshrrev_b32_e32 v8, 8, v9
	v_bfe_u32 v15, v9, 20, 11
	v_cndmask_b32_e64 v0, 0, 1, vcc
	v_and_or_b32 v0, v8, s14, v0
	v_sub_u32_e32 v16, 0x3f1, v15
	v_or_b32_e32 v8, 0x1000, v0
	v_med3_i32 v16, v16, 0, 13
	v_lshrrev_b32_e32 v17, v16, v8
	v_lshlrev_b32_e32 v16, v16, v17
	v_cmp_ne_u32_e32 vcc, v16, v8
	v_add_u32_e32 v15, 0xfffffc10, v15
	v_lshl_or_b32 v16, v15, 12, v0
	v_cndmask_b32_e64 v8, 0, 1, vcc
	v_or_b32_e32 v8, v17, v8
	v_cmp_gt_i32_e32 vcc, 1, v15
	v_cvt_f32_f16_e32 v1, v1
	v_and_b32_sdwa v12, v9, s16 dst_sel:DWORD dst_unused:UNUSED_PAD src0_sel:WORD_1 src1_sel:DWORD
	v_cndmask_b32_e32 v8, v16, v8, vcc
	v_and_b32_e32 v16, 7, v8
	v_cmp_lt_i32_e32 vcc, 5, v16
	v_cmp_eq_u32_e64 s[0:1], 3, v16
	v_lshrrev_b32_e32 v8, 2, v8
	s_or_b64 vcc, s[0:1], vcc
	v_addc_co_u32_e32 v8, vcc, 0, v8, vcc
	v_cmp_gt_i32_e32 vcc, 31, v15
	s_nop 1
	v_cndmask_b32_e32 v8, v4, v8, vcc
	v_cmp_ne_u32_e32 vcc, 0, v0
	s_nop 1
	v_cndmask_b32_e64 v0, 0, 1, vcc
	v_lshl_or_b32 v0, v0, 9, v4
	v_cmp_eq_u32_e32 vcc, s15, v15
	s_nop 1
	v_cndmask_b32_e32 v7, v8, v0, vcc
	v_cvt_f64_f32_e32 v[0:1], v1
	v_mul_f64 v[0:1], v[0:1], s[6:7]
	v_and_or_b32 v0, v1, s10, v0
	v_cmp_ne_u32_e32 vcc, 0, v0
	v_lshrrev_b32_e32 v8, 8, v1
	v_bfe_u32 v9, v1, 20, 11
	v_cndmask_b32_e64 v0, 0, 1, vcc
	v_and_or_b32 v0, v8, s14, v0
	v_sub_u32_e32 v15, 0x3f1, v9
	v_or_b32_e32 v8, 0x1000, v0
	v_med3_i32 v15, v15, 0, 13
	v_lshrrev_b32_e32 v16, v15, v8
	v_lshlrev_b32_e32 v15, v15, v16
	v_cmp_ne_u32_e32 vcc, v15, v8
	v_add_u32_e32 v9, 0xfffffc10, v9
	v_lshl_or_b32 v15, v9, 12, v0
	v_cndmask_b32_e64 v8, 0, 1, vcc
	v_or_b32_e32 v8, v16, v8
	v_cmp_gt_i32_e32 vcc, 1, v9
	v_lshrrev_b32_e32 v1, 16, v1
	s_nop 0
	v_cndmask_b32_e32 v8, v15, v8, vcc
	v_and_b32_e32 v15, 7, v8
	v_cmp_lt_i32_e32 vcc, 5, v15
	v_cmp_eq_u32_e64 s[0:1], 3, v15
	v_lshrrev_b32_e32 v8, 2, v8
	s_or_b64 vcc, s[0:1], vcc
	v_addc_co_u32_e32 v8, vcc, 0, v8, vcc
	v_cmp_gt_i32_e32 vcc, 31, v9
	s_nop 1
	v_cndmask_b32_e32 v8, v4, v8, vcc
	v_cmp_ne_u32_e32 vcc, 0, v0
	s_nop 1
	v_cndmask_b32_e64 v0, 0, 1, vcc
	v_lshl_or_b32 v0, v0, 9, v4
	v_cmp_eq_u32_e32 vcc, s15, v9
	s_nop 1
	v_cndmask_b32_e32 v0, v8, v0, vcc
	ds_read2_b32 v[8:9], v6 offset0:162 offset1:180
	v_and_or_b32 v0, v1, s16, v0
	v_bitop3_b32 v1, v12, s2, v7 bitop3:0xc8
	v_lshl_or_b32 v7, v0, 16, v1
	s_waitcnt lgkmcnt(0)
	v_lshrrev_b32_e32 v12, 16, v8
	s_waitcnt vmcnt(3)
	v_mul_f16_sdwa v0, v12, v10 dst_sel:DWORD dst_unused:UNUSED_PAD src0_sel:DWORD src1_sel:WORD_1
	v_fma_f16 v0, v8, v10, v0
	v_cvt_f32_f16_e32 v15, v0
	v_mad_u64_u32 v[0:1], s[0:1], s8, v5, v[2:3]
	v_add_u32_e32 v1, s3, v1
	v_cvt_f64_f32_e32 v[2:3], v15
	v_mul_f64 v[2:3], v[2:3], s[6:7]
	v_and_or_b32 v2, v3, s10, v2
	v_cmp_ne_u32_e32 vcc, 0, v2
	global_store_dword v[0:1], v7, off
	v_lshrrev_b32_e32 v7, 8, v3
	v_cndmask_b32_e64 v2, 0, 1, vcc
	v_bfe_u32 v15, v3, 20, 11
	v_and_or_b32 v2, v7, s14, v2
	v_sub_u32_e32 v16, 0x3f1, v15
	v_or_b32_e32 v7, 0x1000, v2
	v_med3_i32 v16, v16, 0, 13
	v_lshrrev_b32_e32 v17, v16, v7
	v_lshlrev_b32_e32 v16, v16, v17
	v_cmp_ne_u32_e32 vcc, v16, v7
	v_add_u32_e32 v15, 0xfffffc10, v15
	v_lshl_or_b32 v16, v15, 12, v2
	v_cndmask_b32_e64 v7, 0, 1, vcc
	v_or_b32_e32 v7, v17, v7
	v_cmp_gt_i32_e32 vcc, 1, v15
	v_mul_f16_sdwa v8, v8, v10 dst_sel:DWORD dst_unused:UNUSED_PAD src0_sel:DWORD src1_sel:WORD_1
	v_fma_f16 v8, v10, v12, -v8
	v_cndmask_b32_e32 v7, v16, v7, vcc
	v_and_b32_e32 v16, 7, v7
	v_cmp_lt_i32_e32 vcc, 5, v16
	v_cmp_eq_u32_e64 s[0:1], 3, v16
	v_lshrrev_b32_e32 v7, 2, v7
	s_or_b64 vcc, s[0:1], vcc
	v_addc_co_u32_e32 v7, vcc, 0, v7, vcc
	v_cmp_gt_i32_e32 vcc, 31, v15
	v_cvt_f32_f16_e32 v8, v8
	v_and_b32_sdwa v10, v3, s16 dst_sel:DWORD dst_unused:UNUSED_PAD src0_sel:WORD_1 src1_sel:DWORD
	v_cndmask_b32_e32 v7, v4, v7, vcc
	v_cmp_ne_u32_e32 vcc, 0, v2
	s_nop 1
	v_cndmask_b32_e64 v2, 0, 1, vcc
	v_lshl_or_b32 v2, v2, 9, v4
	v_cmp_eq_u32_e32 vcc, s15, v15
	s_nop 1
	v_cndmask_b32_e32 v7, v7, v2, vcc
	v_cvt_f64_f32_e32 v[2:3], v8
	v_mul_f64 v[2:3], v[2:3], s[6:7]
	v_and_or_b32 v2, v3, s10, v2
	v_cmp_ne_u32_e32 vcc, 0, v2
	v_lshrrev_b32_e32 v8, 8, v3
	v_bfe_u32 v12, v3, 20, 11
	v_cndmask_b32_e64 v2, 0, 1, vcc
	v_and_or_b32 v2, v8, s14, v2
	v_sub_u32_e32 v15, 0x3f1, v12
	v_or_b32_e32 v8, 0x1000, v2
	v_med3_i32 v15, v15, 0, 13
	v_lshrrev_b32_e32 v16, v15, v8
	v_lshlrev_b32_e32 v15, v15, v16
	v_cmp_ne_u32_e32 vcc, v15, v8
	v_add_u32_e32 v12, 0xfffffc10, v12
	v_lshl_or_b32 v15, v12, 12, v2
	v_cndmask_b32_e64 v8, 0, 1, vcc
	v_or_b32_e32 v8, v16, v8
	v_cmp_gt_i32_e32 vcc, 1, v12
	v_lshrrev_b32_e32 v3, 16, v3
	s_nop 0
	v_cndmask_b32_e32 v8, v15, v8, vcc
	v_and_b32_e32 v15, 7, v8
	v_cmp_lt_i32_e32 vcc, 5, v15
	v_cmp_eq_u32_e64 s[0:1], 3, v15
	v_lshrrev_b32_e32 v8, 2, v8
	s_or_b64 vcc, s[0:1], vcc
	v_addc_co_u32_e32 v8, vcc, 0, v8, vcc
	v_cmp_gt_i32_e32 vcc, 31, v12
	v_mad_u64_u32 v[0:1], s[0:1], s8, v5, v[0:1]
	s_nop 0
	v_cndmask_b32_e32 v8, v4, v8, vcc
	v_cmp_ne_u32_e32 vcc, 0, v2
	v_add_u32_e32 v1, s3, v1
	s_nop 0
	v_cndmask_b32_e64 v2, 0, 1, vcc
	v_lshl_or_b32 v2, v2, 9, v4
	v_cmp_eq_u32_e32 vcc, s15, v12
	s_nop 1
	v_cndmask_b32_e32 v2, v8, v2, vcc
	v_and_or_b32 v2, v3, s16, v2
	v_bitop3_b32 v3, v10, s2, v7 bitop3:0xc8
	v_lshrrev_b32_e32 v7, 16, v9
	v_lshl_or_b32 v2, v2, 16, v3
	s_waitcnt vmcnt(3)
	v_mul_f16_sdwa v3, v7, v13 dst_sel:DWORD dst_unused:UNUSED_PAD src0_sel:DWORD src1_sel:WORD_1
	v_fma_f16 v3, v9, v13, v3
	v_cvt_f32_f16_e32 v3, v3
	global_store_dword v[0:1], v2, off
	v_mul_f16_sdwa v9, v9, v13 dst_sel:DWORD dst_unused:UNUSED_PAD src0_sel:DWORD src1_sel:WORD_1
	v_fma_f16 v7, v13, v7, -v9
	v_cvt_f64_f32_e32 v[2:3], v3
	v_mul_f64 v[2:3], v[2:3], s[6:7]
	v_and_or_b32 v2, v3, s10, v2
	v_cmp_ne_u32_e32 vcc, 0, v2
	v_lshrrev_b32_e32 v8, 8, v3
	v_bfe_u32 v10, v3, 20, 11
	v_cndmask_b32_e64 v2, 0, 1, vcc
	v_and_or_b32 v2, v8, s14, v2
	v_sub_u32_e32 v12, 0x3f1, v10
	v_or_b32_e32 v8, 0x1000, v2
	v_med3_i32 v12, v12, 0, 13
	v_lshrrev_b32_e32 v15, v12, v8
	v_lshlrev_b32_e32 v12, v12, v15
	v_cmp_ne_u32_e32 vcc, v12, v8
	v_add_u32_e32 v10, 0xfffffc10, v10
	v_lshl_or_b32 v12, v10, 12, v2
	v_cndmask_b32_e64 v8, 0, 1, vcc
	v_or_b32_e32 v8, v15, v8
	v_cmp_gt_i32_e32 vcc, 1, v10
	v_cvt_f32_f16_e32 v7, v7
	v_and_b32_sdwa v9, v3, s16 dst_sel:DWORD dst_unused:UNUSED_PAD src0_sel:WORD_1 src1_sel:DWORD
	v_cndmask_b32_e32 v8, v12, v8, vcc
	v_and_b32_e32 v12, 7, v8
	v_cmp_lt_i32_e32 vcc, 5, v12
	v_cmp_eq_u32_e64 s[0:1], 3, v12
	v_lshrrev_b32_e32 v8, 2, v8
	s_or_b64 vcc, s[0:1], vcc
	v_addc_co_u32_e32 v8, vcc, 0, v8, vcc
	v_cmp_gt_i32_e32 vcc, 31, v10
	s_nop 1
	v_cndmask_b32_e32 v8, v4, v8, vcc
	v_cmp_ne_u32_e32 vcc, 0, v2
	s_nop 1
	v_cndmask_b32_e64 v2, 0, 1, vcc
	v_lshl_or_b32 v2, v2, 9, v4
	v_cmp_eq_u32_e32 vcc, s15, v10
	s_nop 1
	v_cndmask_b32_e32 v8, v8, v2, vcc
	v_cvt_f64_f32_e32 v[2:3], v7
	v_mul_f64 v[2:3], v[2:3], s[6:7]
	v_and_or_b32 v2, v3, s10, v2
	v_cmp_ne_u32_e32 vcc, 0, v2
	v_lshrrev_b32_e32 v7, 8, v3
	v_bfe_u32 v10, v3, 20, 11
	v_cndmask_b32_e64 v2, 0, 1, vcc
	v_and_or_b32 v2, v7, s14, v2
	v_sub_u32_e32 v12, 0x3f1, v10
	v_or_b32_e32 v7, 0x1000, v2
	v_med3_i32 v12, v12, 0, 13
	v_lshrrev_b32_e32 v13, v12, v7
	v_lshlrev_b32_e32 v12, v12, v13
	v_cmp_ne_u32_e32 vcc, v12, v7
	v_add_u32_e32 v10, 0xfffffc10, v10
	v_lshl_or_b32 v12, v10, 12, v2
	v_cndmask_b32_e64 v7, 0, 1, vcc
	v_or_b32_e32 v7, v13, v7
	v_cmp_gt_i32_e32 vcc, 1, v10
	v_lshrrev_b32_e32 v3, 16, v3
	s_nop 0
	v_cndmask_b32_e32 v7, v12, v7, vcc
	v_and_b32_e32 v12, 7, v7
	v_cmp_lt_i32_e32 vcc, 5, v12
	v_cmp_eq_u32_e64 s[0:1], 3, v12
	v_lshrrev_b32_e32 v7, 2, v7
	s_or_b64 vcc, s[0:1], vcc
	v_addc_co_u32_e32 v7, vcc, 0, v7, vcc
	v_cmp_gt_i32_e32 vcc, 31, v10
	v_mad_u64_u32 v[0:1], s[0:1], s8, v5, v[0:1]
	s_nop 0
	v_cndmask_b32_e32 v7, v4, v7, vcc
	v_cmp_ne_u32_e32 vcc, 0, v2
	v_add_u32_e32 v1, s3, v1
	s_nop 0
	v_cndmask_b32_e64 v2, 0, 1, vcc
	v_lshl_or_b32 v2, v2, 9, v4
	v_cmp_eq_u32_e32 vcc, s15, v10
	s_nop 1
	v_cndmask_b32_e32 v2, v7, v2, vcc
	ds_read2_b32 v[6:7], v6 offset0:198 offset1:216
	v_and_or_b32 v2, v3, s16, v2
	v_bitop3_b32 v3, v9, s2, v8 bitop3:0xc8
	v_lshl_or_b32 v2, v2, 16, v3
	global_store_dword v[0:1], v2, off
	s_waitcnt lgkmcnt(0)
	v_lshrrev_b32_e32 v8, 16, v6
	s_waitcnt vmcnt(4)
	v_mul_f16_sdwa v3, v8, v14 dst_sel:DWORD dst_unused:UNUSED_PAD src0_sel:DWORD src1_sel:WORD_1
	v_fma_f16 v3, v6, v14, v3
	v_cvt_f32_f16_e32 v3, v3
	v_mul_f16_sdwa v6, v6, v14 dst_sel:DWORD dst_unused:UNUSED_PAD src0_sel:DWORD src1_sel:WORD_1
	v_fma_f16 v6, v14, v8, -v6
	v_cvt_f32_f16_e32 v6, v6
	v_cvt_f64_f32_e32 v[2:3], v3
	v_mul_f64 v[2:3], v[2:3], s[6:7]
	v_and_or_b32 v2, v3, s10, v2
	v_cmp_ne_u32_e32 vcc, 0, v2
	v_lshrrev_b32_e32 v9, 8, v3
	v_bfe_u32 v10, v3, 20, 11
	v_cndmask_b32_e64 v2, 0, 1, vcc
	v_and_or_b32 v2, v9, s14, v2
	v_sub_u32_e32 v12, 0x3f1, v10
	v_or_b32_e32 v9, 0x1000, v2
	v_med3_i32 v12, v12, 0, 13
	v_lshrrev_b32_e32 v13, v12, v9
	v_lshlrev_b32_e32 v12, v12, v13
	v_cmp_ne_u32_e32 vcc, v12, v9
	v_add_u32_e32 v10, 0xfffffc10, v10
	v_lshl_or_b32 v12, v10, 12, v2
	v_cndmask_b32_e64 v9, 0, 1, vcc
	v_or_b32_e32 v9, v13, v9
	v_cmp_gt_i32_e32 vcc, 1, v10
	s_nop 1
	v_cndmask_b32_e32 v9, v12, v9, vcc
	v_and_b32_e32 v12, 7, v9
	v_cmp_lt_i32_e32 vcc, 5, v12
	v_cmp_eq_u32_e64 s[0:1], 3, v12
	v_lshrrev_b32_e32 v9, 2, v9
	s_or_b64 vcc, s[0:1], vcc
	v_addc_co_u32_e32 v9, vcc, 0, v9, vcc
	v_cmp_gt_i32_e32 vcc, 31, v10
	s_nop 1
	v_cndmask_b32_e32 v9, v4, v9, vcc
	v_cmp_ne_u32_e32 vcc, 0, v2
	s_nop 1
	v_cndmask_b32_e64 v2, 0, 1, vcc
	v_lshl_or_b32 v2, v2, 9, v4
	v_cmp_eq_u32_e32 vcc, s15, v10
	s_nop 1
	v_cndmask_b32_e32 v8, v9, v2, vcc
	v_and_b32_sdwa v9, v3, s16 dst_sel:DWORD dst_unused:UNUSED_PAD src0_sel:WORD_1 src1_sel:DWORD
	v_cvt_f64_f32_e32 v[2:3], v6
	v_mul_f64 v[2:3], v[2:3], s[6:7]
	v_and_or_b32 v2, v3, s10, v2
	v_cmp_ne_u32_e32 vcc, 0, v2
	v_lshrrev_b32_e32 v6, 8, v3
	v_bfe_u32 v10, v3, 20, 11
	v_cndmask_b32_e64 v2, 0, 1, vcc
	v_and_or_b32 v2, v6, s14, v2
	v_sub_u32_e32 v12, 0x3f1, v10
	v_or_b32_e32 v6, 0x1000, v2
	v_med3_i32 v12, v12, 0, 13
	v_lshrrev_b32_e32 v13, v12, v6
	v_lshlrev_b32_e32 v12, v12, v13
	v_cmp_ne_u32_e32 vcc, v12, v6
	v_add_u32_e32 v10, 0xfffffc10, v10
	v_lshl_or_b32 v12, v10, 12, v2
	v_cndmask_b32_e64 v6, 0, 1, vcc
	v_or_b32_e32 v6, v13, v6
	v_cmp_gt_i32_e32 vcc, 1, v10
	v_lshrrev_b32_e32 v3, 16, v3
	s_nop 0
	v_cndmask_b32_e32 v6, v12, v6, vcc
	v_and_b32_e32 v12, 7, v6
	v_cmp_lt_i32_e32 vcc, 5, v12
	v_cmp_eq_u32_e64 s[0:1], 3, v12
	v_lshrrev_b32_e32 v6, 2, v6
	s_or_b64 vcc, s[0:1], vcc
	v_addc_co_u32_e32 v6, vcc, 0, v6, vcc
	v_cmp_gt_i32_e32 vcc, 31, v10
	v_mad_u64_u32 v[0:1], s[0:1], s8, v5, v[0:1]
	s_nop 0
	v_cndmask_b32_e32 v6, v4, v6, vcc
	v_cmp_ne_u32_e32 vcc, 0, v2
	v_add_u32_e32 v1, s3, v1
	s_nop 0
	v_cndmask_b32_e64 v2, 0, 1, vcc
	v_lshl_or_b32 v2, v2, 9, v4
	v_cmp_eq_u32_e32 vcc, s15, v10
	s_nop 1
	v_cndmask_b32_e32 v2, v6, v2, vcc
	v_and_or_b32 v2, v3, s16, v2
	v_bitop3_b32 v3, v9, s2, v8 bitop3:0xc8
	v_lshl_or_b32 v2, v2, 16, v3
	global_store_dword v[0:1], v2, off
	global_load_dword v6, v11, s[12:13] offset:864
	v_lshrrev_b32_e32 v8, 16, v7
	s_waitcnt vmcnt(0)
	v_mul_f16_sdwa v2, v8, v6 dst_sel:DWORD dst_unused:UNUSED_PAD src0_sel:DWORD src1_sel:WORD_1
	v_fma_f16 v2, v7, v6, v2
	v_cvt_f32_f16_e32 v2, v2
	v_mul_f16_sdwa v7, v7, v6 dst_sel:DWORD dst_unused:UNUSED_PAD src0_sel:DWORD src1_sel:WORD_1
	v_fma_f16 v6, v6, v8, -v7
	v_cvt_f32_f16_e32 v6, v6
	v_cvt_f64_f32_e32 v[2:3], v2
	v_mul_f64 v[2:3], v[2:3], s[6:7]
	v_and_or_b32 v2, v3, s10, v2
	v_cmp_ne_u32_e32 vcc, 0, v2
	v_lshrrev_b32_e32 v9, 8, v3
	v_bfe_u32 v10, v3, 20, 11
	v_cndmask_b32_e64 v2, 0, 1, vcc
	v_and_or_b32 v2, v9, s14, v2
	v_sub_u32_e32 v11, 0x3f1, v10
	v_or_b32_e32 v9, 0x1000, v2
	v_med3_i32 v11, v11, 0, 13
	v_lshrrev_b32_e32 v12, v11, v9
	v_lshlrev_b32_e32 v11, v11, v12
	v_cmp_ne_u32_e32 vcc, v11, v9
	v_add_u32_e32 v10, 0xfffffc10, v10
	v_lshl_or_b32 v11, v10, 12, v2
	v_cndmask_b32_e64 v9, 0, 1, vcc
	v_or_b32_e32 v9, v12, v9
	v_cmp_gt_i32_e32 vcc, 1, v10
	v_and_b32_sdwa v8, v3, s16 dst_sel:DWORD dst_unused:UNUSED_PAD src0_sel:WORD_1 src1_sel:DWORD
	s_nop 0
	v_cndmask_b32_e32 v9, v11, v9, vcc
	v_and_b32_e32 v11, 7, v9
	v_cmp_lt_i32_e32 vcc, 5, v11
	v_cmp_eq_u32_e64 s[0:1], 3, v11
	v_lshrrev_b32_e32 v9, 2, v9
	s_or_b64 vcc, s[0:1], vcc
	v_addc_co_u32_e32 v9, vcc, 0, v9, vcc
	v_cmp_gt_i32_e32 vcc, 31, v10
	s_nop 1
	v_cndmask_b32_e32 v9, v4, v9, vcc
	v_cmp_ne_u32_e32 vcc, 0, v2
	s_nop 1
	v_cndmask_b32_e64 v2, 0, 1, vcc
	v_lshl_or_b32 v2, v2, 9, v4
	v_cmp_eq_u32_e32 vcc, s15, v10
	s_nop 1
	v_cndmask_b32_e32 v7, v9, v2, vcc
	v_cvt_f64_f32_e32 v[2:3], v6
	v_mul_f64 v[2:3], v[2:3], s[6:7]
	v_and_or_b32 v2, v3, s10, v2
	v_cmp_ne_u32_e32 vcc, 0, v2
	v_lshrrev_b32_e32 v6, 8, v3
	v_bfe_u32 v9, v3, 20, 11
	v_cndmask_b32_e64 v2, 0, 1, vcc
	v_and_or_b32 v2, v6, s14, v2
	v_sub_u32_e32 v10, 0x3f1, v9
	v_or_b32_e32 v6, 0x1000, v2
	v_med3_i32 v10, v10, 0, 13
	v_lshrrev_b32_e32 v11, v10, v6
	v_lshlrev_b32_e32 v10, v10, v11
	v_cmp_ne_u32_e32 vcc, v10, v6
	v_add_u32_e32 v9, 0xfffffc10, v9
	v_lshl_or_b32 v10, v9, 12, v2
	v_cndmask_b32_e64 v6, 0, 1, vcc
	v_or_b32_e32 v6, v11, v6
	v_cmp_gt_i32_e32 vcc, 1, v9
	v_lshrrev_b32_e32 v3, 16, v3
	s_nop 0
	v_cndmask_b32_e32 v6, v10, v6, vcc
	v_and_b32_e32 v10, 7, v6
	v_cmp_lt_i32_e32 vcc, 5, v10
	v_cmp_eq_u32_e64 s[0:1], 3, v10
	v_lshrrev_b32_e32 v6, 2, v6
	s_or_b64 vcc, s[0:1], vcc
	v_addc_co_u32_e32 v6, vcc, 0, v6, vcc
	v_cmp_gt_i32_e32 vcc, 31, v9
	v_mad_u64_u32 v[0:1], s[0:1], s8, v5, v[0:1]
	s_nop 0
	v_cndmask_b32_e32 v6, v4, v6, vcc
	v_cmp_ne_u32_e32 vcc, 0, v2
	v_add_u32_e32 v1, s3, v1
	s_nop 0
	v_cndmask_b32_e64 v2, 0, 1, vcc
	v_lshl_or_b32 v2, v2, 9, v4
	v_cmp_eq_u32_e32 vcc, s15, v9
	s_nop 1
	v_cndmask_b32_e32 v2, v6, v2, vcc
	v_and_or_b32 v2, v3, s16, v2
	v_bitop3_b32 v3, v8, s2, v7 bitop3:0xc8
	v_lshl_or_b32 v2, v2, 16, v3
	global_store_dword v[0:1], v2, off
.LBB0_23:
	s_endpgm
	.section	.rodata,"a",@progbits
	.p2align	6, 0x0
	.amdhsa_kernel bluestein_single_back_len234_dim1_half_op_CI_CI
		.amdhsa_group_segment_fixed_size 1872
		.amdhsa_private_segment_fixed_size 0
		.amdhsa_kernarg_size 104
		.amdhsa_user_sgpr_count 2
		.amdhsa_user_sgpr_dispatch_ptr 0
		.amdhsa_user_sgpr_queue_ptr 0
		.amdhsa_user_sgpr_kernarg_segment_ptr 1
		.amdhsa_user_sgpr_dispatch_id 0
		.amdhsa_user_sgpr_kernarg_preload_length 0
		.amdhsa_user_sgpr_kernarg_preload_offset 0
		.amdhsa_user_sgpr_private_segment_size 0
		.amdhsa_uses_dynamic_stack 0
		.amdhsa_enable_private_segment 0
		.amdhsa_system_sgpr_workgroup_id_x 1
		.amdhsa_system_sgpr_workgroup_id_y 0
		.amdhsa_system_sgpr_workgroup_id_z 0
		.amdhsa_system_sgpr_workgroup_info 0
		.amdhsa_system_vgpr_workitem_id 0
		.amdhsa_next_free_vgpr 134
		.amdhsa_next_free_sgpr 30
		.amdhsa_accum_offset 136
		.amdhsa_reserve_vcc 1
		.amdhsa_float_round_mode_32 0
		.amdhsa_float_round_mode_16_64 0
		.amdhsa_float_denorm_mode_32 3
		.amdhsa_float_denorm_mode_16_64 3
		.amdhsa_dx10_clamp 1
		.amdhsa_ieee_mode 1
		.amdhsa_fp16_overflow 0
		.amdhsa_tg_split 0
		.amdhsa_exception_fp_ieee_invalid_op 0
		.amdhsa_exception_fp_denorm_src 0
		.amdhsa_exception_fp_ieee_div_zero 0
		.amdhsa_exception_fp_ieee_overflow 0
		.amdhsa_exception_fp_ieee_underflow 0
		.amdhsa_exception_fp_ieee_inexact 0
		.amdhsa_exception_int_div_zero 0
	.end_amdhsa_kernel
	.text
.Lfunc_end0:
	.size	bluestein_single_back_len234_dim1_half_op_CI_CI, .Lfunc_end0-bluestein_single_back_len234_dim1_half_op_CI_CI
                                        ; -- End function
	.section	.AMDGPU.csdata,"",@progbits
; Kernel info:
; codeLenInByte = 19028
; NumSgprs: 36
; NumVgprs: 134
; NumAgprs: 0
; TotalNumVgprs: 134
; ScratchSize: 0
; MemoryBound: 0
; FloatMode: 240
; IeeeMode: 1
; LDSByteSize: 1872 bytes/workgroup (compile time only)
; SGPRBlocks: 4
; VGPRBlocks: 16
; NumSGPRsForWavesPerEU: 36
; NumVGPRsForWavesPerEU: 134
; AccumOffset: 136
; Occupancy: 3
; WaveLimiterHint : 1
; COMPUTE_PGM_RSRC2:SCRATCH_EN: 0
; COMPUTE_PGM_RSRC2:USER_SGPR: 2
; COMPUTE_PGM_RSRC2:TRAP_HANDLER: 0
; COMPUTE_PGM_RSRC2:TGID_X_EN: 1
; COMPUTE_PGM_RSRC2:TGID_Y_EN: 0
; COMPUTE_PGM_RSRC2:TGID_Z_EN: 0
; COMPUTE_PGM_RSRC2:TIDIG_COMP_CNT: 0
; COMPUTE_PGM_RSRC3_GFX90A:ACCUM_OFFSET: 33
; COMPUTE_PGM_RSRC3_GFX90A:TG_SPLIT: 0
	.text
	.p2alignl 6, 3212836864
	.fill 256, 4, 3212836864
	.type	__hip_cuid_f9671864473d8608,@object ; @__hip_cuid_f9671864473d8608
	.section	.bss,"aw",@nobits
	.globl	__hip_cuid_f9671864473d8608
__hip_cuid_f9671864473d8608:
	.byte	0                               ; 0x0
	.size	__hip_cuid_f9671864473d8608, 1

	.ident	"AMD clang version 19.0.0git (https://github.com/RadeonOpenCompute/llvm-project roc-6.4.0 25133 c7fe45cf4b819c5991fe208aaa96edf142730f1d)"
	.section	".note.GNU-stack","",@progbits
	.addrsig
	.addrsig_sym __hip_cuid_f9671864473d8608
	.amdgpu_metadata
---
amdhsa.kernels:
  - .agpr_count:     0
    .args:
      - .actual_access:  read_only
        .address_space:  global
        .offset:         0
        .size:           8
        .value_kind:     global_buffer
      - .actual_access:  read_only
        .address_space:  global
        .offset:         8
        .size:           8
        .value_kind:     global_buffer
      - .actual_access:  read_only
        .address_space:  global
        .offset:         16
        .size:           8
        .value_kind:     global_buffer
      - .actual_access:  read_only
        .address_space:  global
        .offset:         24
        .size:           8
        .value_kind:     global_buffer
      - .actual_access:  read_only
        .address_space:  global
        .offset:         32
        .size:           8
        .value_kind:     global_buffer
      - .offset:         40
        .size:           8
        .value_kind:     by_value
      - .address_space:  global
        .offset:         48
        .size:           8
        .value_kind:     global_buffer
      - .address_space:  global
        .offset:         56
        .size:           8
        .value_kind:     global_buffer
      - .address_space:  global
        .offset:         64
        .size:           8
        .value_kind:     global_buffer
      - .address_space:  global
        .offset:         72
        .size:           8
        .value_kind:     global_buffer
      - .offset:         80
        .size:           4
        .value_kind:     by_value
      - .address_space:  global
        .offset:         88
        .size:           8
        .value_kind:     global_buffer
      - .address_space:  global
        .offset:         96
        .size:           8
        .value_kind:     global_buffer
    .group_segment_fixed_size: 1872
    .kernarg_segment_align: 8
    .kernarg_segment_size: 104
    .language:       OpenCL C
    .language_version:
      - 2
      - 0
    .max_flat_workgroup_size: 52
    .name:           bluestein_single_back_len234_dim1_half_op_CI_CI
    .private_segment_fixed_size: 0
    .sgpr_count:     36
    .sgpr_spill_count: 0
    .symbol:         bluestein_single_back_len234_dim1_half_op_CI_CI.kd
    .uniform_work_group_size: 1
    .uses_dynamic_stack: false
    .vgpr_count:     134
    .vgpr_spill_count: 0
    .wavefront_size: 64
amdhsa.target:   amdgcn-amd-amdhsa--gfx950
amdhsa.version:
  - 1
  - 2
...

	.end_amdgpu_metadata
